;; amdgpu-corpus repo=ROCm/rocFFT kind=compiled arch=gfx1030 opt=O3
	.text
	.amdgcn_target "amdgcn-amd-amdhsa--gfx1030"
	.amdhsa_code_object_version 6
	.protected	bluestein_single_fwd_len1540_dim1_half_op_CI_CI ; -- Begin function bluestein_single_fwd_len1540_dim1_half_op_CI_CI
	.globl	bluestein_single_fwd_len1540_dim1_half_op_CI_CI
	.p2align	8
	.type	bluestein_single_fwd_len1540_dim1_half_op_CI_CI,@function
bluestein_single_fwd_len1540_dim1_half_op_CI_CI: ; @bluestein_single_fwd_len1540_dim1_half_op_CI_CI
; %bb.0:
	s_load_dwordx4 s[0:3], s[4:5], 0x28
	v_mul_u32_u24_e32 v1, 0x1aa, v0
	v_mov_b32_e32 v13, 0
	v_lshrrev_b32_e32 v1, 16, v1
	v_add_nc_u32_e32 v12, s6, v1
	s_waitcnt lgkmcnt(0)
	v_cmp_gt_u64_e32 vcc_lo, s[0:1], v[12:13]
	s_and_saveexec_b32 s0, vcc_lo
	s_cbranch_execz .LBB0_23
; %bb.1:
	s_clause 0x1
	s_load_dwordx2 s[14:15], s[4:5], 0x0
	s_load_dwordx2 s[12:13], s[4:5], 0x38
	v_mul_lo_u16 v1, 0x9a, v1
	v_sub_nc_u16 v0, v0, v1
	v_and_b32_e32 v32, 0xffff, v0
	v_cmp_gt_u16_e32 vcc_lo, 0x8c, v0
	v_lshlrev_b32_e32 v31, 2, v32
	s_and_saveexec_b32 s1, vcc_lo
	s_cbranch_execz .LBB0_3
; %bb.2:
	s_load_dwordx2 s[6:7], s[4:5], 0x18
	v_add_nc_u32_e32 v28, 0x800, v31
	s_waitcnt lgkmcnt(0)
	s_load_dwordx4 s[8:11], s[6:7], 0x0
	s_clause 0x3
	global_load_dword v8, v31, s[14:15]
	global_load_dword v9, v31, s[14:15] offset:560
	global_load_dword v10, v31, s[14:15] offset:1120
	global_load_dword v11, v31, s[14:15] offset:1680
	s_waitcnt lgkmcnt(0)
	v_mad_u64_u32 v[0:1], null, s10, v12, 0
	v_mad_u64_u32 v[2:3], null, s8, v32, 0
	s_mul_i32 s6, s9, 0x230
	s_mul_hi_u32 s7, s8, 0x230
	s_add_i32 s7, s7, s6
	v_mad_u64_u32 v[4:5], null, s11, v12, v[1:2]
	v_mad_u64_u32 v[5:6], null, s9, v32, v[3:4]
	v_mov_b32_e32 v1, v4
	v_add_co_u32 v6, s0, s14, v31
	v_add_co_ci_u32_e64 v7, null, s15, 0, s0
	v_lshlrev_b64 v[0:1], 2, v[0:1]
	v_mov_b32_e32 v3, v5
	v_add_co_u32 v4, s0, 0x800, v6
	v_add_co_ci_u32_e64 v5, s0, 0, v7, s0
	v_lshlrev_b64 v[2:3], 2, v[2:3]
	v_add_co_u32 v0, s0, s2, v0
	v_add_co_ci_u32_e64 v1, s0, s3, v1, s0
	s_mul_i32 s2, s8, 0x230
	v_add_co_u32 v0, s0, v0, v2
	v_add_co_ci_u32_e64 v1, s0, v1, v3, s0
	v_add_co_u32 v2, s0, v0, s2
	v_add_co_ci_u32_e64 v3, s0, s7, v1, s0
	s_clause 0x1
	global_load_dword v13, v[0:1], off
	global_load_dword v14, v[2:3], off
	v_add_co_u32 v0, s0, v2, s2
	v_add_co_ci_u32_e64 v1, s0, s7, v3, s0
	v_add_co_u32 v2, s0, v0, s2
	v_add_co_ci_u32_e64 v3, s0, s7, v1, s0
	global_load_dword v15, v[0:1], off
	v_add_co_u32 v0, s0, v2, s2
	v_add_co_ci_u32_e64 v1, s0, s7, v3, s0
	v_add_co_u32 v6, s0, 0x1000, v6
	s_clause 0x1
	global_load_dword v16, v[2:3], off
	global_load_dword v17, v[0:1], off
	v_add_co_ci_u32_e64 v7, s0, 0, v7, s0
	v_add_co_u32 v0, s0, v0, s2
	v_add_co_ci_u32_e64 v1, s0, s7, v1, s0
	s_clause 0x3
	global_load_dword v18, v[4:5], off offset:192
	global_load_dword v19, v[4:5], off offset:752
	;; [unrolled: 1-line block ×4, first 2 shown]
	v_add_co_u32 v2, s0, v0, s2
	v_add_co_ci_u32_e64 v3, s0, s7, v1, s0
	global_load_dword v5, v[0:1], off
	v_add_co_u32 v0, s0, v2, s2
	v_add_co_ci_u32_e64 v1, s0, s7, v3, s0
	global_load_dword v21, v[2:3], off
	;; [unrolled: 3-line block ×4, first 2 shown]
	v_add_co_u32 v2, s0, v0, s2
	v_add_co_ci_u32_e64 v3, s0, s7, v1, s0
	global_load_dword v24, v[6:7], off offset:384
	global_load_dword v0, v[0:1], off
	global_load_dword v1, v[2:3], off
	s_clause 0x1
	global_load_dword v2, v[6:7], off offset:944
	global_load_dword v3, v[6:7], off offset:1504
	v_add_nc_u32_e32 v7, 0x400, v31
	s_waitcnt vmcnt(17)
	v_lshrrev_b32_e32 v6, 16, v13
	v_mul_f16_sdwa v25, v8, v13 dst_sel:DWORD dst_unused:UNUSED_PAD src0_sel:WORD_1 src1_sel:DWORD
	s_waitcnt vmcnt(16)
	v_lshrrev_b32_e32 v27, 16, v14
	v_mul_f16_sdwa v29, v9, v14 dst_sel:DWORD dst_unused:UNUSED_PAD src0_sel:WORD_1 src1_sel:DWORD
	v_mul_f16_sdwa v26, v8, v6 dst_sel:DWORD dst_unused:UNUSED_PAD src0_sel:WORD_1 src1_sel:DWORD
	v_fma_f16 v6, v8, v6, -v25
	v_fma_f16 v25, v9, v27, -v29
	v_fmac_f16_e32 v26, v8, v13
	v_mul_f16_sdwa v8, v9, v27 dst_sel:DWORD dst_unused:UNUSED_PAD src0_sel:WORD_1 src1_sel:DWORD
	s_waitcnt vmcnt(15)
	v_lshrrev_b32_e32 v13, 16, v15
	v_mul_f16_sdwa v27, v10, v15 dst_sel:DWORD dst_unused:UNUSED_PAD src0_sel:WORD_1 src1_sel:DWORD
	v_pack_b32_f16 v6, v26, v6
	v_fmac_f16_e32 v8, v9, v14
	v_mul_f16_sdwa v9, v10, v13 dst_sel:DWORD dst_unused:UNUSED_PAD src0_sel:WORD_1 src1_sel:DWORD
	s_waitcnt vmcnt(14)
	v_lshrrev_b32_e32 v14, 16, v16
	v_mul_f16_sdwa v26, v11, v16 dst_sel:DWORD dst_unused:UNUSED_PAD src0_sel:WORD_1 src1_sel:DWORD
	v_fma_f16 v13, v10, v13, -v27
	v_pack_b32_f16 v8, v8, v25
	v_fmac_f16_e32 v9, v10, v15
	v_mul_f16_sdwa v10, v11, v14 dst_sel:DWORD dst_unused:UNUSED_PAD src0_sel:WORD_1 src1_sel:DWORD
	s_waitcnt vmcnt(13)
	v_lshrrev_b32_e32 v15, 16, v17
	v_fma_f16 v14, v11, v14, -v26
	s_waitcnt vmcnt(12)
	v_mul_f16_sdwa v25, v18, v17 dst_sel:DWORD dst_unused:UNUSED_PAD src0_sel:WORD_1 src1_sel:DWORD
	ds_write2_b32 v31, v6, v8 offset1:140
	v_pack_b32_f16 v6, v9, v13
	v_fmac_f16_e32 v10, v11, v16
	v_mul_f16_sdwa v8, v18, v15 dst_sel:DWORD dst_unused:UNUSED_PAD src0_sel:WORD_1 src1_sel:DWORD
	s_waitcnt vmcnt(8)
	v_lshrrev_b32_e32 v9, 16, v5
	v_fma_f16 v11, v18, v15, -v25
	v_mul_f16_sdwa v13, v19, v5 dst_sel:DWORD dst_unused:UNUSED_PAD src0_sel:WORD_1 src1_sel:DWORD
	v_pack_b32_f16 v10, v10, v14
	v_fmac_f16_e32 v8, v18, v17
	v_mul_f16_sdwa v14, v19, v9 dst_sel:DWORD dst_unused:UNUSED_PAD src0_sel:WORD_1 src1_sel:DWORD
	s_waitcnt vmcnt(7)
	v_lshrrev_b32_e32 v15, 16, v21
	v_fma_f16 v9, v19, v9, -v13
	v_mul_f16_sdwa v13, v20, v21 dst_sel:DWORD dst_unused:UNUSED_PAD src0_sel:WORD_1 src1_sel:DWORD
	;; [unrolled: 7-line block ×3, first 2 shown]
	v_pack_b32_f16 v9, v14, v9
	v_fmac_f16_e32 v5, v20, v21
	v_mul_f16_sdwa v14, v4, v11 dst_sel:DWORD dst_unused:UNUSED_PAD src0_sel:WORD_1 src1_sel:DWORD
	s_waitcnt vmcnt(5)
	v_lshrrev_b32_e32 v16, 16, v23
	v_fma_f16 v11, v4, v11, -v15
	s_waitcnt vmcnt(4)
	v_mul_f16_sdwa v15, v24, v23 dst_sel:DWORD dst_unused:UNUSED_PAD src0_sel:WORD_1 src1_sel:DWORD
	v_pack_b32_f16 v5, v5, v13
	v_fmac_f16_e32 v14, v4, v22
	s_waitcnt vmcnt(3)
	v_lshrrev_b32_e32 v13, 16, v0
	s_waitcnt vmcnt(2)
	v_lshrrev_b32_e32 v17, 16, v1
	v_mul_f16_sdwa v4, v24, v16 dst_sel:DWORD dst_unused:UNUSED_PAD src0_sel:WORD_1 src1_sel:DWORD
	v_fma_f16 v15, v24, v16, -v15
	s_waitcnt vmcnt(1)
	v_mul_f16_sdwa v16, v2, v0 dst_sel:DWORD dst_unused:UNUSED_PAD src0_sel:WORD_1 src1_sel:DWORD
	v_pack_b32_f16 v11, v14, v11
	v_mul_f16_sdwa v14, v2, v13 dst_sel:DWORD dst_unused:UNUSED_PAD src0_sel:WORD_1 src1_sel:DWORD
	s_waitcnt vmcnt(0)
	v_mul_f16_sdwa v18, v3, v17 dst_sel:DWORD dst_unused:UNUSED_PAD src0_sel:WORD_1 src1_sel:DWORD
	v_mul_f16_sdwa v19, v3, v1 dst_sel:DWORD dst_unused:UNUSED_PAD src0_sel:WORD_1 src1_sel:DWORD
	v_fmac_f16_e32 v4, v24, v23
	v_fma_f16 v13, v2, v13, -v16
	v_fmac_f16_e32 v14, v2, v0
	v_fmac_f16_e32 v18, v3, v1
	v_fma_f16 v0, v3, v17, -v19
	v_add_nc_u32_e32 v1, 0xc00, v31
	v_pack_b32_f16 v2, v4, v15
	v_pack_b32_f16 v3, v14, v13
	v_add_nc_u32_e32 v4, 0x1000, v31
	v_pack_b32_f16 v0, v18, v0
	ds_write2_b32 v7, v6, v10 offset0:24 offset1:164
	ds_write2_b32 v28, v8, v9 offset0:48 offset1:188
	ds_write2_b32 v1, v5, v11 offset0:72 offset1:212
	ds_write2_b32 v4, v2, v3 offset0:96 offset1:236
	ds_write_b32 v31, v0 offset:5600
.LBB0_3:
	s_or_b32 exec_lo, exec_lo, s1
	s_clause 0x1
	s_load_dwordx2 s[0:1], s[4:5], 0x20
	s_load_dwordx2 s[2:3], s[4:5], 0x8
	v_mov_b32_e32 v0, 0
	s_waitcnt lgkmcnt(0)
	s_barrier
	buffer_gl0_inv
                                        ; implicit-def: $vgpr8
                                        ; implicit-def: $vgpr3
                                        ; implicit-def: $vgpr5
                                        ; implicit-def: $vgpr7
                                        ; implicit-def: $vgpr11
                                        ; kill: def $vgpr1 killed $sgpr0 killed $exec
	s_and_saveexec_b32 s4, vcc_lo
	s_cbranch_execz .LBB0_5
; %bb.4:
	v_add_nc_u32_e32 v2, 0x400, v31
	v_add_nc_u32_e32 v3, 0x800, v31
	;; [unrolled: 1-line block ×4, first 2 shown]
	ds_read2_b32 v[0:1], v31 offset1:140
	ds_read2_b32 v[10:11], v2 offset0:24 offset1:164
	ds_read2_b32 v[6:7], v3 offset0:48 offset1:188
	;; [unrolled: 1-line block ×4, first 2 shown]
	ds_read_b32 v8, v31 offset:5600
.LBB0_5:
	s_or_b32 exec_lo, exec_lo, s4
	s_waitcnt lgkmcnt(0)
	v_pk_add_f16 v13, v1, v8 neg_lo:[0,1] neg_hi:[0,1]
	v_mov_b32_e32 v42, 0xb853
	v_pk_add_f16 v18, v8, v1
	v_pk_add_f16 v15, v10, v3 neg_lo:[0,1] neg_hi:[0,1]
	v_mov_b32_e32 v45, 0xbb47
	v_pk_add_f16 v19, v3, v10
	v_mul_f16_sdwa v23, v13, v42 dst_sel:DWORD dst_unused:UNUSED_PAD src0_sel:WORD_1 src1_sel:DWORD
	v_pk_add_f16 v14, v11, v2 neg_lo:[0,1] neg_hi:[0,1]
	v_lshrrev_b32_e32 v37, 16, v18
	v_mul_f16_e32 v30, 0xb853, v13
	v_mul_f16_sdwa v24, v15, v45 dst_sel:DWORD dst_unused:UNUSED_PAD src0_sel:WORD_1 src1_sel:DWORD
	v_fmamk_f16 v9, v18, 0x3abb, v23
	v_mov_b32_e32 v16, 0xbbeb
	v_lshrrev_b32_e32 v38, 16, v19
	v_fma_f16 v17, v37, 0x3abb, -v30
	v_fmamk_f16 v20, v19, 0x36a6, v24
	v_add_f16_e32 v9, v9, v0
	v_mul_f16_e32 v35, 0xbb47, v15
	v_pk_add_f16 v22, v2, v11
	v_mul_f16_sdwa v26, v14, v16 dst_sel:DWORD dst_unused:UNUSED_PAD src0_sel:WORD_1 src1_sel:DWORD
	v_add_f16_sdwa v21, v17, v0 dst_sel:DWORD dst_unused:UNUSED_PAD src0_sel:DWORD src1_sel:WORD_1
	v_add_f16_e32 v9, v20, v9
	v_fma_f16 v16, v38, 0x36a6, -v35
	v_lshrrev_b32_e32 v39, 16, v22
	v_mul_f16_e32 v27, 0xbbeb, v14
	v_fmamk_f16 v25, v22, 0xb08e, v26
	v_pk_add_f16 v17, v6, v5 neg_lo:[0,1] neg_hi:[0,1]
	v_mov_b32_e32 v44, 0xba0c
	v_pk_add_f16 v20, v5, v6
	v_add_f16_e32 v33, v16, v21
	v_add_f16_e32 v9, v25, v9
	v_fma_f16 v25, v39, 0xb08e, -v27
	v_mul_f16_sdwa v28, v17, v44 dst_sel:DWORD dst_unused:UNUSED_PAD src0_sel:WORD_1 src1_sel:DWORD
	v_lshrrev_b32_e32 v41, 16, v20
	v_mul_f16_e32 v29, 0xba0c, v17
	v_pk_add_f16 v16, v7, v4 neg_lo:[0,1] neg_hi:[0,1]
	v_mov_b32_e32 v43, 0xb482
	v_pk_add_f16 v21, v4, v7
	v_add_f16_e32 v25, v25, v33
	v_fmamk_f16 v34, v20, 0xb93d, v28
	v_fma_f16 v46, v41, 0xb93d, -v29
	v_mul_f16_sdwa v33, v16, v43 dst_sel:DWORD dst_unused:UNUSED_PAD src0_sel:WORD_1 src1_sel:DWORD
	v_lshrrev_b32_e32 v40, 16, v21
	v_mul_f16_e32 v36, 0xb482, v16
	v_add_f16_e32 v9, v34, v9
	v_add_f16_e32 v25, v46, v25
	v_fmamk_f16 v34, v21, 0xbbad, v33
	v_fma_f16 v46, v40, 0xbbad, -v36
	s_barrier
	buffer_gl0_inv
	v_add_f16_e32 v9, v34, v9
	v_mul_lo_u16 v34, v32, 11
	v_add_f16_e32 v25, v46, v25
	s_and_saveexec_b32 s4, vcc_lo
	s_cbranch_execz .LBB0_7
; %bb.6:
	v_mul_f16_sdwa v45, v13, v45 dst_sel:DWORD dst_unused:UNUSED_PAD src0_sel:WORD_1 src1_sel:DWORD
	v_mul_f16_sdwa v47, v15, v44 dst_sel:DWORD dst_unused:UNUSED_PAD src0_sel:WORD_1 src1_sel:DWORD
	v_mov_b32_e32 v48, 0x3482
	v_mul_f16_e32 v49, 0xb08e, v37
	v_mul_f16_e32 v51, 0xbbad, v38
	v_fmamk_f16 v50, v18, 0x36a6, v45
	v_fmamk_f16 v52, v19, 0xb93d, v47
	v_mul_f16_sdwa v48, v14, v48 dst_sel:DWORD dst_unused:UNUSED_PAD src0_sel:WORD_1 src1_sel:DWORD
	v_fmamk_f16 v53, v13, 0x3beb, v49
	v_mov_b32_e32 v54, 0x3beb
	v_add_f16_e32 v50, v50, v0
	v_fmamk_f16 v55, v15, 0xb482, v51
	v_fmamk_f16 v56, v22, 0xbbad, v48
	v_add_f16_sdwa v53, v53, v0 dst_sel:DWORD dst_unused:UNUSED_PAD src0_sel:DWORD src1_sel:WORD_1
	v_pk_add_f16 v1, v1, v0
	v_add_f16_e32 v50, v52, v50
	v_mul_f16_e32 v52, 0x36a6, v39
	v_mov_b32_e32 v57, 0x3853
	v_mul_f16_sdwa v58, v17, v54 dst_sel:DWORD dst_unused:UNUSED_PAD src0_sel:WORD_1 src1_sel:DWORD
	v_add_f16_e32 v53, v55, v53
	v_add_f16_e32 v50, v56, v50
	v_fmamk_f16 v55, v14, 0xbb47, v52
	v_mul_f16_e32 v56, 0x3abb, v41
	v_pk_add_f16 v1, v10, v1
	v_pk_mul_f16 v46, 0x36a6b08e, v18
	v_fmamk_f16 v59, v20, 0xb08e, v58
	v_mul_f16_sdwa v57, v16, v57 dst_sel:DWORD dst_unused:UNUSED_PAD src0_sel:WORD_1 src1_sel:DWORD
	v_add_f16_e32 v53, v55, v53
	v_fmamk_f16 v55, v17, 0x3853, v56
	v_mul_f16_e32 v60, 0xb93d, v40
	v_pk_add_f16 v1, v11, v1
	v_add_f16_e32 v10, v59, v50
	v_fmamk_f16 v50, v21, 0x3abb, v57
	v_pk_fma_f16 v59, 0xbbebbb47, v13, v46 op_sel:[0,0,1] op_sel_hi:[1,1,0]
	v_pk_mul_f16 v61, 0xb93dbbad, v19
	v_add_f16_e32 v53, v55, v53
	v_fmamk_f16 v55, v16, 0x3a0c, v60
	v_pk_add_f16 v1, v6, v1
	v_alignbit_b32 v11, s0, v59, 16
	v_pk_fma_f16 v62, 0x3482ba0c, v15, v61 op_sel:[0,0,1] op_sel_hi:[1,1,0]
	v_add_f16_e32 v10, v50, v10
	v_add_f16_e32 v50, v55, v53
	v_mul_f16_e32 v55, 0xb93d, v37
	v_pk_add_f16 v1, v7, v1
	v_mul_f16_sdwa v7, v13, v44 dst_sel:DWORD dst_unused:UNUSED_PAD src0_sel:WORD_1 src1_sel:DWORD
	v_pk_add_f16 v6, v11, v0
	v_alignbit_b32 v11, s0, v62, 16
	v_pk_mul_f16 v53, 0xbbad36a6, v22
	v_fmamk_f16 v44, v13, 0x3a0c, v55
	v_mul_f16_e32 v63, 0xb08e, v38
	v_fmamk_f16 v64, v18, 0xb93d, v7
	v_mul_f16_sdwa v54, v15, v54 dst_sel:DWORD dst_unused:UNUSED_PAD src0_sel:WORD_1 src1_sel:DWORD
	v_fma_f16 v7, v18, 0xb93d, -v7
	v_pk_add_f16 v6, v11, v6
	v_pk_fma_f16 v11, 0x3b473482, v14, v53 op_sel:[0,0,1] op_sel_hi:[1,1,0]
	v_add_f16_sdwa v44, v44, v0 dst_sel:DWORD dst_unused:UNUSED_PAD src0_sel:DWORD src1_sel:WORD_1
	v_fmamk_f16 v66, v15, 0xbbeb, v63
	v_add_f16_e32 v64, v64, v0
	v_fmamk_f16 v67, v19, 0xb08e, v54
	v_mul_f16_sdwa v42, v14, v42 dst_sel:DWORD dst_unused:UNUSED_PAD src0_sel:WORD_1 src1_sel:DWORD
	v_add_f16_e32 v7, v7, v0
	v_fma_f16 v54, v19, 0xb08e, -v54
	v_fmac_f16_e32 v49, 0xbbeb, v13
	v_alignbit_b32 v65, s0, v11, 16
	v_add_f16_e32 v44, v66, v44
	v_add_f16_e32 v64, v67, v64
	v_fmamk_f16 v66, v22, 0x3abb, v42
	v_mul_f16_sdwa v43, v17, v43 dst_sel:DWORD dst_unused:UNUSED_PAD src0_sel:WORD_1 src1_sel:DWORD
	v_mov_b32_e32 v67, 0x3b47
	v_fmac_f16_e32 v55, 0xba0c, v13
	v_add_f16_e32 v7, v54, v7
	v_fma_f16 v42, v22, 0x3abb, -v42
	v_add_f16_sdwa v49, v49, v0 dst_sel:DWORD dst_unused:UNUSED_PAD src0_sel:DWORD src1_sel:WORD_1
	v_fmac_f16_e32 v51, 0x3482, v15
	v_pk_add_f16 v6, v65, v6
	v_mul_f16_e32 v65, 0x3abb, v39
	v_mul_f16_sdwa v67, v16, v67 dst_sel:DWORD dst_unused:UNUSED_PAD src0_sel:WORD_1 src1_sel:DWORD
	v_add_f16_sdwa v55, v55, v0 dst_sel:DWORD dst_unused:UNUSED_PAD src0_sel:DWORD src1_sel:WORD_1
	v_fmac_f16_e32 v63, 0x3beb, v15
	v_add_f16_e32 v7, v42, v7
	v_fma_f16 v42, v20, 0xbbad, -v43
	v_add_f16_e32 v49, v51, v49
	v_fmac_f16_e32 v52, 0x3b47, v14
	v_fmamk_f16 v68, v14, 0x3853, v65
	v_add_f16_e32 v55, v63, v55
	v_fmac_f16_e32 v65, 0xb853, v14
	v_mul_f16_e32 v63, 0xbbad, v41
	v_add_f16_e32 v7, v42, v7
	v_fma_f16 v42, v21, 0x36a6, -v67
	v_fma_f16 v45, v18, 0x36a6, -v45
	v_add_f16_e32 v49, v52, v49
	v_fmac_f16_e32 v56, 0xb853, v17
	v_add_f16_e32 v55, v65, v55
	v_fmamk_f16 v65, v17, 0x3482, v63
	v_fmac_f16_e32 v63, 0xb482, v17
	v_mul_f16_e32 v54, 0x36a6, v40
	v_add_f16_e32 v7, v42, v7
	v_add_f16_e32 v42, v45, v0
	v_fma_f16 v45, v19, 0xb93d, -v47
	v_add_f16_e32 v47, v56, v49
	v_mul_f16_e32 v49, 0x3abb, v18
	v_mul_f16_e32 v37, 0x3abb, v37
	v_add_f16_e32 v64, v66, v64
	v_fmamk_f16 v66, v20, 0xbbad, v43
	v_add_f16_e32 v43, v63, v55
	v_fmamk_f16 v51, v16, 0x3b47, v54
	v_add_f16_e32 v42, v45, v42
	v_mul_f16_e32 v45, 0x36a6, v19
	v_mul_f16_e32 v38, 0x36a6, v38
	v_add_f16_e32 v30, v30, v37
	v_sub_f16_e32 v23, v49, v23
	v_add_f16_e32 v43, v51, v43
	v_fma_f16 v48, v22, 0xbbad, -v48
	v_mul_f16_e32 v51, 0xb08e, v22
	v_mul_f16_e32 v39, 0xb08e, v39
	v_add_f16_e32 v35, v35, v38
	v_add_f16_sdwa v30, v30, v0 dst_sel:DWORD dst_unused:UNUSED_PAD src0_sel:DWORD src1_sel:WORD_1
	v_add_f16_e32 v23, v23, v0
	v_sub_f16_e32 v24, v45, v24
	v_pk_add_f16 v1, v4, v1
	v_add_f16_e32 v42, v48, v42
	v_mul_f16_e32 v48, 0xb93d, v20
	v_mul_f16_e32 v41, 0xb93d, v41
	v_add_f16_e32 v30, v35, v30
	v_add_f16_e32 v27, v27, v39
	;; [unrolled: 1-line block ×3, first 2 shown]
	v_sub_f16_e32 v26, v51, v26
	v_pk_add_f16 v1, v5, v1
	v_pk_fma_f16 v46, 0xbbebbb47, v13, v46 op_sel:[0,0,1] op_sel_hi:[1,1,0] neg_lo:[0,1,0] neg_hi:[0,1,0]
	v_mul_f16_e32 v37, 0xbbad, v21
	v_mul_f16_e32 v40, 0xbbad, v40
	v_add_f16_e32 v4, v27, v30
	v_add_f16_e32 v27, v29, v41
	;; [unrolled: 1-line block ×3, first 2 shown]
	v_sub_f16_e32 v26, v48, v28
	v_pk_add_f16 v1, v2, v1
	v_pk_fma_f16 v55, 0x3482ba0c, v15, v61 op_sel:[0,0,1] op_sel_hi:[1,1,0] neg_lo:[0,1,0] neg_hi:[0,1,0]
	v_add_f16_e32 v4, v27, v4
	v_add_f16_e32 v27, v36, v40
	;; [unrolled: 1-line block ×3, first 2 shown]
	v_sub_f16_e32 v2, v37, v33
	v_bfi_b32 v26, 0xffff, v59, v46
	v_pk_add_f16 v1, v3, v1
	v_pk_fma_f16 v53, 0x3b473482, v14, v53 op_sel:[0,0,1] op_sel_hi:[1,1,0] neg_lo:[0,1,0] neg_hi:[0,1,0]
	v_add_f16_e32 v4, v27, v4
	v_mov_b32_e32 v27, 2
	v_add_f16_e32 v2, v2, v23
	v_pk_add_f16 v3, v26, v0 op_sel:[0,1] op_sel_hi:[1,0]
	v_bfi_b32 v23, 0xffff, v62, v55
	v_pk_add_f16 v1, v8, v1
	v_pk_mul_f16 v8, 0xbbad, v18 op_sel_hi:[0,1]
	v_pk_mul_f16 v38, 0xb08e3abb, v20
	v_alignbit_b32 v39, s0, v0, 16
	v_lshlrev_b32_sdwa v26, v27, v34 dst_sel:DWORD dst_unused:UNUSED_PAD src0_sel:DWORD src1_sel:WORD_0
	v_pack_b32_f16 v2, v2, v4
	v_pk_add_f16 v3, v23, v3
	v_bfi_b32 v4, 0xffff, v11, v53
	v_pk_fma_f16 v11, 0xb482, v13, v8 op_sel:[0,0,1] op_sel_hi:[0,1,0] neg_lo:[0,1,0] neg_hi:[0,1,0]
	v_pk_mul_f16 v18, 0x3abb, v19 op_sel_hi:[0,1]
	v_pk_fma_f16 v49, 0xb8533beb, v17, v38 op_sel:[0,0,1] op_sel_hi:[1,1,0] neg_lo:[0,1,0] neg_hi:[0,1,0]
	v_pk_fma_f16 v38, 0xb8533beb, v17, v38 op_sel:[0,0,1] op_sel_hi:[1,1,0]
	v_fma_f16 v52, v20, 0xb08e, -v58
	ds_write2_b32 v26, v1, v2 offset1:1
	v_pk_add_f16 v1, v4, v3
	v_pk_add_f16 v3, v11, v39
	v_pk_fma_f16 v4, 0x3853, v15, v18 op_sel:[0,0,1] op_sel_hi:[0,1,0] neg_lo:[0,1,0] neg_hi:[0,1,0]
	v_pk_mul_f16 v19, 0xb93d, v22 op_sel_hi:[0,1]
	v_pk_fma_f16 v8, 0xb482, v13, v8 op_sel:[0,0,1] op_sel_hi:[0,1,0]
	v_alignbit_b32 v11, s0, v11, 16
	v_pk_mul_f16 v35, 0x3abbb93d, v21
	v_bfi_b32 v2, 0xffff, v38, v49
	v_add_f16_e32 v42, v52, v42
	v_add_f16_sdwa v52, v46, v0 dst_sel:DWORD dst_unused:UNUSED_PAD src0_sel:DWORD src1_sel:WORD_1
	v_pk_add_f16 v3, v4, v3
	v_pk_fma_f16 v13, 0xba0c, v14, v19 op_sel:[0,0,1] op_sel_hi:[0,1,0] neg_lo:[0,1,0] neg_hi:[0,1,0]
	v_pk_add_f16 v8, v8, v0 op_sel:[0,1] op_sel_hi:[1,0]
	v_pk_fma_f16 v15, 0x3853, v15, v18 op_sel:[0,0,1] op_sel_hi:[0,1,0]
	v_pk_add_f16 v0, v11, v0
	v_alignbit_b32 v4, s0, v4, 16
	v_pk_fma_f16 v45, 0xba0c3853, v16, v35 op_sel:[0,0,1] op_sel_hi:[1,1,0] neg_lo:[0,1,0] neg_hi:[0,1,0]
	v_pk_add_f16 v1, v2, v1
	v_pk_fma_f16 v2, 0xba0c3853, v16, v35 op_sel:[0,0,1] op_sel_hi:[1,1,0]
	v_pk_mul_f16 v18, 0x36a6, v20 op_sel_hi:[0,1]
	v_pk_add_f16 v8, v15, v8
	v_pk_fma_f16 v14, 0xba0c, v14, v19 op_sel:[0,0,1] op_sel_hi:[0,1,0]
	v_pk_add_f16 v0, v4, v0
	v_alignbit_b32 v4, s0, v13, 16
	v_bfi_b32 v2, 0xffff, v2, v45
	v_pk_add_f16 v3, v13, v3
	v_pk_fma_f16 v11, 0x3b47, v17, v18 op_sel:[0,0,1] op_sel_hi:[0,1,0] neg_lo:[0,1,0] neg_hi:[0,1,0]
	v_pk_mul_f16 v15, 0xb08e, v21 op_sel_hi:[0,1]
	v_add_f16_e32 v44, v68, v44
	v_pk_mul_f16 v24, 0xba0c3853, v16
	v_mul_f16_e32 v51, 0x3b47, v16
	v_pk_add_f16 v8, v14, v8
	v_pk_fma_f16 v14, 0x3b47, v17, v18 op_sel:[0,0,1] op_sel_hi:[0,1,0]
	v_pk_add_f16 v0, v4, v0
	v_lshlrev_b32_e32 v4, 16, v6
	v_add_f16_e32 v52, v55, v52
	v_pk_add_f16 v1, v2, v1
	v_pk_add_f16 v2, v11, v3
	v_pk_fma_f16 v3, 0xbbeb, v16, v15 op_sel:[0,0,1] op_sel_hi:[0,1,0] neg_lo:[0,1,0] neg_hi:[0,1,0]
	v_alignbit_b32 v6, s0, v11, 16
	v_pk_add_f16 v8, v14, v8
	v_pack_b32_f16 v11, v65, v35
	v_bfi_b32 v13, 0xffff, v44, v24
	v_pk_add_f16 v14, v54, v51 neg_lo:[0,1] neg_hi:[0,1]
	v_pk_add_f16 v4, v38, v4
	v_add_f16_e32 v52, v53, v52
	v_fmac_f16_e32 v60, 0xba0c, v16
	v_fma_f16 v5, v21, 0x3abb, -v57
	v_pk_fma_f16 v15, 0xbbeb, v16, v15 op_sel:[0,0,1] op_sel_hi:[0,1,0]
	v_pk_add_f16 v0, v6, v0
	v_alignbit_b32 v6, s0, v3, 16
	v_add_f16_e32 v64, v66, v64
	v_fmamk_f16 v66, v21, 0x36a6, v67
	v_pk_add_f16 v11, v11, v13
	v_bfi_b32 v4, 0xffff, v14, v4
	v_add_f16_e32 v52, v49, v52
	v_add_f16_e32 v47, v60, v47
	;; [unrolled: 1-line block ×3, first 2 shown]
	v_pk_add_f16 v2, v3, v2
	v_pk_add_f16 v3, v15, v8
	;; [unrolled: 1-line block ×3, first 2 shown]
	v_add_f16_e32 v64, v66, v64
	v_pk_add_f16 v4, v4, v11
	v_add_f16_e32 v52, v45, v52
	v_alignbit_b32 v13, v47, v1, 16
	v_pack_b32_f16 v1, v5, v1
	v_pack_b32_f16 v5, v7, v43
	v_alignbit_b32 v2, v2, v3, 16
	v_pack_b32_f16 v0, v0, v3
	v_alignbit_b32 v3, v50, v4, 16
	v_pack_b32_f16 v4, v64, v4
	v_pack_b32_f16 v6, v10, v52
	v_perm_b32 v7, v25, v9, 0x5040100
	ds_write2_b32 v26, v1, v13 offset0:2 offset1:3
	ds_write_b32 v26, v5 offset:16
	ds_write2_b32 v26, v0, v2 offset0:5 offset1:6
	ds_write2_b32 v26, v4, v3 offset0:7 offset1:8
	;; [unrolled: 1-line block ×3, first 2 shown]
.LBB0_7:
	s_or_b32 exec_lo, exec_lo, s4
	v_and_b32_e32 v0, 0xff, v32
	v_add_nc_u16 v26, v32, 0x9a
	v_mov_b32_e32 v2, 0xba2f
	v_add_co_u32 v3, null, 0x1ce, v32
	v_mul_lo_u16 v0, 0x75, v0
	v_add_co_u32 v4, null, 0x268, v32
	v_mul_u32_u24_sdwa v7, v3, v2 dst_sel:DWORD dst_unused:UNUSED_PAD src0_sel:WORD_0 src1_sel:DWORD
	v_mov_b32_e32 v8, 2
	v_lshrrev_b16 v0, 8, v0
	s_load_dwordx4 s[4:7], s[0:1], 0x0
	s_waitcnt lgkmcnt(0)
	v_lshrrev_b32_e32 v18, 19, v7
	s_barrier
	v_sub_nc_u16 v1, v32, v0
	buffer_gl0_inv
	v_lshlrev_b32_sdwa v33, v8, v32 dst_sel:DWORD dst_unused:UNUSED_PAD src0_sel:DWORD src1_sel:WORD_0
	v_mov_b32_e32 v27, 22
	v_cmp_gt_u16_e64 s0, 0x42, v32
	v_lshrrev_b16 v1, 1, v1
	v_add_nc_u32_e32 v10, 0x400, v33
	v_add_nc_u32_e32 v13, 0x1200, v33
	;; [unrolled: 1-line block ×3, first 2 shown]
	v_and_b32_e32 v1, 0x7f, v1
	v_add_nc_u32_e32 v35, 0xd80, v33
	v_add_nc_u16 v0, v1, v0
	v_add_co_u32 v1, null, 0x134, v32
	v_lshrrev_b16 v15, 3, v0
	v_mul_u32_u24_sdwa v0, v26, v2 dst_sel:DWORD dst_unused:UNUSED_PAD src0_sel:WORD_0 src1_sel:DWORD
	v_mul_u32_u24_sdwa v5, v1, v2 dst_sel:DWORD dst_unused:UNUSED_PAD src0_sel:WORD_0 src1_sel:DWORD
	;; [unrolled: 1-line block ×3, first 2 shown]
	v_mul_lo_u16 v6, v15, 11
	v_lshrrev_b32_e32 v16, 19, v0
	v_lshrrev_b32_e32 v17, 19, v5
	;; [unrolled: 1-line block ×3, first 2 shown]
	v_mul_u32_u24_sdwa v15, v15, v27 dst_sel:DWORD dst_unused:UNUSED_PAD src0_sel:WORD_0 src1_sel:DWORD
	v_sub_nc_u16 v5, v32, v6
	v_mul_lo_u16 v6, v16, 11
	v_mul_lo_u16 v2, v17, 11
	v_and_b32_e32 v20, 0xff, v5
	v_mul_lo_u16 v5, v18, 11
	v_sub_nc_u16 v21, v26, v6
	v_mul_lo_u16 v6, v19, 11
	v_sub_nc_u16 v22, v1, v2
	v_lshlrev_b32_e32 v1, 2, v20
	v_sub_nc_u16 v23, v3, v5
	v_lshlrev_b32_sdwa v2, v8, v21 dst_sel:DWORD dst_unused:UNUSED_PAD src0_sel:DWORD src1_sel:WORD_0
	v_sub_nc_u16 v24, v4, v6
	v_lshlrev_b32_sdwa v3, v8, v22 dst_sel:DWORD dst_unused:UNUSED_PAD src0_sel:DWORD src1_sel:WORD_0
	global_load_dword v39, v1, s[2:3]
	v_add_nc_u32_e32 v6, 0xe00, v33
	global_load_dword v40, v2, s[2:3]
	v_lshlrev_b32_sdwa v1, v8, v23 dst_sel:DWORD dst_unused:UNUSED_PAD src0_sel:DWORD src1_sel:WORD_0
	v_lshlrev_b32_sdwa v2, v8, v24 dst_sel:DWORD dst_unused:UNUSED_PAD src0_sel:DWORD src1_sel:WORD_0
	s_clause 0x2
	global_load_dword v41, v3, s[2:3]
	global_load_dword v38, v1, s[2:3]
	;; [unrolled: 1-line block ×3, first 2 shown]
	v_add_nc_u32_e32 v1, 0x900, v33
	ds_read2_b32 v[2:3], v33 offset1:154
	ds_read2_b32 v[4:5], v1 offset0:40 offset1:194
	ds_read2_b32 v[6:7], v6 offset0:28 offset1:182
	;; [unrolled: 1-line block ×4, first 2 shown]
	v_mad_u16 v16, v16, 22, v21
	v_mad_u16 v17, v17, 22, v22
	;; [unrolled: 1-line block ×4, first 2 shown]
	v_add_lshl_u32 v46, v15, v20, 2
	v_lshlrev_b32_sdwa v42, v8, v16 dst_sel:DWORD dst_unused:UNUSED_PAD src0_sel:DWORD src1_sel:WORD_0
	v_lshlrev_b32_sdwa v43, v8, v17 dst_sel:DWORD dst_unused:UNUSED_PAD src0_sel:DWORD src1_sel:WORD_0
	v_lshlrev_b32_sdwa v44, v8, v18 dst_sel:DWORD dst_unused:UNUSED_PAD src0_sel:DWORD src1_sel:WORD_0
	v_lshlrev_b32_sdwa v45, v8, v19 dst_sel:DWORD dst_unused:UNUSED_PAD src0_sel:DWORD src1_sel:WORD_0
	s_waitcnt vmcnt(0) lgkmcnt(0)
	s_barrier
	buffer_gl0_inv
	v_lshrrev_b32_e32 v21, 16, v2
	v_lshrrev_b32_e32 v8, 16, v5
	;; [unrolled: 1-line block ×10, first 2 shown]
	v_mul_f16_sdwa v15, v8, v39 dst_sel:DWORD dst_unused:UNUSED_PAD src0_sel:DWORD src1_sel:WORD_1
	v_mul_f16_sdwa v20, v5, v39 dst_sel:DWORD dst_unused:UNUSED_PAD src0_sel:DWORD src1_sel:WORD_1
	;; [unrolled: 1-line block ×10, first 2 shown]
	v_fma_f16 v5, v5, v39, -v15
	v_fmac_f16_e32 v20, v8, v39
	v_fma_f16 v6, v6, v40, -v29
	v_fmac_f16_e32 v30, v16, v40
	;; [unrolled: 2-line block ×5, first 2 shown]
	v_sub_f16_e32 v5, v2, v5
	v_sub_f16_e32 v14, v21, v20
	;; [unrolled: 1-line block ×10, first 2 shown]
	v_fma_f16 v2, v2, 2.0, -v5
	v_fma_f16 v13, v21, 2.0, -v14
	;; [unrolled: 1-line block ×10, first 2 shown]
	v_pack_b32_f16 v4, v5, v14
	v_pack_b32_f16 v2, v2, v13
	;; [unrolled: 1-line block ×10, first 2 shown]
	ds_write2_b32 v46, v2, v4 offset1:11
	ds_write2_b32 v42, v3, v5 offset1:11
	;; [unrolled: 1-line block ×5, first 2 shown]
	s_waitcnt lgkmcnt(0)
	s_barrier
	buffer_gl0_inv
	ds_read2_b32 v[10:11], v33 offset1:220
	ds_read2_b32 v[21:22], v28 offset0:24 offset1:244
	ds_read2_b32 v[19:20], v35 offset0:16 offset1:236
	ds_read_b32 v28, v33 offset:5280
                                        ; implicit-def: $vgpr24
                                        ; implicit-def: $vgpr49
                                        ; implicit-def: $vgpr48
                                        ; implicit-def: $vgpr51
                                        ; implicit-def: $vgpr50
	s_and_saveexec_b32 s1, s0
	s_cbranch_execz .LBB0_9
; %bb.8:
	v_add_nc_u32_e32 v2, 0x200, v33
	v_add_nc_u32_e32 v3, 0x1000, v33
	ds_read2_b32 v[8:9], v1 offset0:18 offset1:238
	ds_read2_b32 v[17:18], v2 offset0:26 offset1:246
	;; [unrolled: 1-line block ×3, first 2 shown]
	ds_read_b32 v48, v33 offset:5896
	s_waitcnt lgkmcnt(3)
	v_lshrrev_b32_e32 v29, 16, v8
	v_lshrrev_b32_e32 v25, 16, v9
	s_waitcnt lgkmcnt(2)
	v_lshrrev_b32_e32 v27, 16, v17
	v_lshrrev_b32_e32 v30, 16, v18
	;; [unrolled: 3-line block ×3, first 2 shown]
	s_waitcnt lgkmcnt(0)
	v_lshrrev_b32_e32 v51, 16, v48
.LBB0_9:
	s_or_b32 exec_lo, exec_lo, s1
	v_lshrrev_b32_e32 v35, 20, v0
	v_lshrrev_b16 v1, 1, v32
	v_mov_b32_e32 v53, 0x9a
	s_waitcnt lgkmcnt(3)
	v_lshrrev_b32_e32 v54, 16, v11
	s_waitcnt lgkmcnt(2)
	v_lshrrev_b32_e32 v55, 16, v21
	v_mul_lo_u16 v0, v35, 22
	v_and_b32_e32 v6, 0x7f, v1
	s_waitcnt lgkmcnt(1)
	v_lshrrev_b32_e32 v57, 16, v20
	s_waitcnt lgkmcnt(0)
	v_lshrrev_b32_e32 v58, 16, v28
	v_lshrrev_b32_e32 v56, 16, v19
	v_sub_nc_u16 v36, v26, v0
	v_mul_lo_u16 v6, 0xbb, v6
	v_mul_lo_u16 v0, v36, 24
	v_lshrrev_b16 v47, 11, v6
	v_and_b32_e32 v0, 0xffff, v0
	v_add_co_u32 v4, s1, s2, v0
	v_add_co_ci_u32_e64 v5, null, s3, 0, s1
	s_clause 0x1
	global_load_dwordx4 v[0:3], v[4:5], off offset:44
	global_load_dwordx2 v[13:14], v[4:5], off offset:60
	v_mul_lo_u16 v4, v47, 22
	v_mul_u32_u24_sdwa v47, v47, v53 dst_sel:DWORD dst_unused:UNUSED_PAD src0_sel:WORD_0 src1_sel:DWORD
	v_lshrrev_b32_e32 v53, 16, v22
	v_sub_nc_u16 v4, v32, v4
	v_and_b32_e32 v52, 0xff, v4
	v_mad_u64_u32 v[15:16], null, v52, 24, s[2:3]
	v_add_lshl_u32 v47, v47, v52, 2
	s_clause 0x1
	global_load_dwordx4 v[4:7], v[15:16], off offset:44
	global_load_dwordx2 v[15:16], v[15:16], off offset:60
	s_waitcnt vmcnt(0)
	s_barrier
	buffer_gl0_inv
	v_mul_f16_sdwa v52, v30, v0 dst_sel:DWORD dst_unused:UNUSED_PAD src0_sel:DWORD src1_sel:WORD_1
	v_mul_f16_sdwa v59, v18, v0 dst_sel:DWORD dst_unused:UNUSED_PAD src0_sel:DWORD src1_sel:WORD_1
	;; [unrolled: 1-line block ×12, first 2 shown]
	v_fma_f16 v18, v18, v0, -v52
	v_fmac_f16_e32 v59, v30, v0
	v_fma_f16 v8, v8, v1, -v60
	v_fmac_f16_e32 v61, v29, v1
	v_fma_f16 v9, v9, v2, -v62
	v_fmac_f16_e32 v63, v25, v2
	v_fma_f16 v23, v23, v3, -v64
	v_fma_f16 v25, v48, v14, -v68
	v_fmac_f16_e32 v69, v51, v14
	v_fmac_f16_e32 v65, v50, v3
	v_fma_f16 v24, v24, v13, -v66
	v_fmac_f16_e32 v67, v49, v13
	v_add_f16_e32 v29, v18, v25
	v_add_f16_e32 v30, v59, v69
	v_sub_f16_e32 v18, v18, v25
	v_sub_f16_e32 v25, v59, v69
	v_add_f16_e32 v48, v8, v24
	v_add_f16_e32 v49, v61, v67
	v_sub_f16_e32 v8, v8, v24
	v_sub_f16_e32 v24, v61, v67
	;; [unrolled: 4-line block ×3, first 2 shown]
	v_mul_f16_sdwa v52, v54, v4 dst_sel:DWORD dst_unused:UNUSED_PAD src0_sel:DWORD src1_sel:WORD_1
	v_mul_f16_sdwa v59, v11, v4 dst_sel:DWORD dst_unused:UNUSED_PAD src0_sel:DWORD src1_sel:WORD_1
	;; [unrolled: 1-line block ×12, first 2 shown]
	v_add_f16_e32 v70, v48, v29
	v_add_f16_e32 v71, v49, v30
	v_sub_f16_e32 v72, v48, v29
	v_sub_f16_e32 v73, v49, v30
	;; [unrolled: 1-line block ×4, first 2 shown]
	v_add_f16_e32 v74, v9, v8
	v_add_f16_e32 v75, v23, v24
	v_sub_f16_e32 v76, v9, v8
	v_sub_f16_e32 v77, v23, v24
	;; [unrolled: 1-line block ×5, first 2 shown]
	v_fma_f16 v8, v11, v4, -v52
	v_fmac_f16_e32 v59, v54, v4
	v_fma_f16 v9, v21, v5, -v60
	v_fmac_f16_e32 v61, v55, v5
	;; [unrolled: 2-line block ×4, first 2 shown]
	v_sub_f16_e32 v30, v30, v51
	v_sub_f16_e32 v48, v50, v48
	;; [unrolled: 1-line block ×3, first 2 shown]
	v_fma_f16 v11, v22, v6, -v62
	v_fmac_f16_e32 v63, v53, v6
	v_fma_f16 v19, v19, v7, -v64
	v_fmac_f16_e32 v65, v56, v7
	v_add_f16_e32 v28, v50, v70
	v_add_f16_e32 v50, v51, v71
	v_mul_f16_e32 v22, 0x3a52, v29
	v_mul_f16_e32 v51, 0x2b26, v49
	;; [unrolled: 1-line block ×5, first 2 shown]
	v_add_f16_e32 v56, v8, v21
	v_add_f16_e32 v57, v59, v69
	;; [unrolled: 1-line block ×4, first 2 shown]
	v_mul_f16_e32 v29, 0x3a52, v30
	v_mul_f16_e32 v30, 0x2b26, v48
	;; [unrolled: 1-line block ×3, first 2 shown]
	v_sub_f16_e32 v58, v8, v21
	v_sub_f16_e32 v59, v59, v69
	;; [unrolled: 1-line block ×4, first 2 shown]
	v_add_f16_e32 v66, v11, v19
	v_add_f16_e32 v67, v63, v65
	v_sub_f16_e32 v19, v19, v11
	v_sub_f16_e32 v63, v65, v63
	v_add_f16_e32 v8, v17, v28
	v_add_f16_e32 v9, v27, v50
	v_fmamk_f16 v17, v48, 0x2b26, v22
	v_fma_f16 v48, v73, 0x39e0, -v51
	v_fmamk_f16 v11, v78, 0x3574, v52
	v_fmamk_f16 v20, v23, 0x3574, v53
	v_fma_f16 v51, v79, 0x3b00, -v52
	v_fma_f16 v52, v24, 0x3b00, -v53
	;; [unrolled: 1-line block ×3, first 2 shown]
	v_add_f16_e32 v23, v60, v56
	v_add_f16_e32 v24, v62, v57
	v_add_f16_e32 v18, v74, v18
	v_add_f16_e32 v25, v75, v25
	v_fmamk_f16 v27, v49, 0x2b26, v29
	v_fma_f16 v30, v72, 0x39e0, -v30
	v_fma_f16 v49, v72, 0xb9e0, -v22
	;; [unrolled: 1-line block ×3, first 2 shown]
	v_sub_f16_e32 v53, v60, v56
	v_sub_f16_e32 v54, v62, v57
	;; [unrolled: 1-line block ×6, first 2 shown]
	v_add_f16_e32 v62, v19, v64
	v_add_f16_e32 v65, v63, v61
	v_sub_f16_e32 v68, v19, v64
	v_sub_f16_e32 v69, v63, v61
	;; [unrolled: 1-line block ×4, first 2 shown]
	v_fmamk_f16 v28, v28, 0xbcab, v8
	v_fmamk_f16 v50, v50, 0xbcab, v9
	v_add_f16_e32 v66, v66, v23
	v_add_f16_e32 v67, v67, v24
	v_fma_f16 v29, v73, 0xb9e0, -v29
	v_sub_f16_e32 v19, v58, v19
	v_sub_f16_e32 v63, v59, v63
	v_fmac_f16_e32 v11, 0x370e, v18
	v_fmac_f16_e32 v20, 0x370e, v25
	;; [unrolled: 1-line block ×6, first 2 shown]
	v_add_f16_e32 v58, v62, v58
	v_add_f16_e32 v59, v65, v59
	v_mul_f16_e32 v18, 0x3a52, v55
	v_mul_f16_e32 v55, 0x3a52, v56
	;; [unrolled: 1-line block ×8, first 2 shown]
	v_add_f16_e32 v23, v17, v28
	v_add_f16_e32 v17, v30, v28
	;; [unrolled: 1-line block ×5, first 2 shown]
	v_add_f16_sdwa v10, v10, v67 dst_sel:DWORD dst_unused:UNUSED_PAD src0_sel:WORD_1 src1_sel:DWORD
	v_add_f16_e32 v24, v27, v50
	v_add_f16_e32 v27, v29, v50
	v_fmamk_f16 v29, v57, 0x2b26, v18
	v_fmamk_f16 v49, v60, 0x2b26, v55
	v_fma_f16 v50, v53, 0x39e0, -v56
	v_fma_f16 v56, v54, 0x39e0, -v62
	;; [unrolled: 1-line block ×4, first 2 shown]
	v_fmamk_f16 v60, v19, 0x3574, v65
	v_fmamk_f16 v62, v63, 0x3574, v68
	v_fma_f16 v64, v64, 0x3b00, -v65
	v_fma_f16 v65, v19, 0xb574, -v69
	;; [unrolled: 1-line block ×3, first 2 shown]
	v_add_f16_e32 v57, v51, v30
	v_sub_f16_e32 v48, v30, v51
	v_fmamk_f16 v30, v66, 0xbcab, v28
	v_fmamk_f16 v51, v67, 0xbcab, v10
	v_fma_f16 v61, v61, 0x3b00, -v68
	v_fmac_f16_e32 v60, 0x370e, v58
	v_fmac_f16_e32 v62, 0x370e, v59
	;; [unrolled: 1-line block ×4, first 2 shown]
	v_pack_b32_f16 v10, v28, v10
	v_add_f16_e32 v28, v29, v30
	v_add_f16_e32 v29, v49, v51
	;; [unrolled: 1-line block ×5, first 2 shown]
	v_fmac_f16_e32 v64, 0x370e, v58
	v_fmac_f16_e32 v61, 0x370e, v59
	v_add_f16_e32 v51, v56, v51
	v_add_f16_e32 v53, v62, v28
	v_sub_f16_e32 v54, v29, v60
	v_add_f16_e32 v56, v63, v30
	v_sub_f16_e32 v58, v50, v65
	v_sub_f16_e32 v59, v49, v61
	v_add_f16_e32 v66, v64, v51
	v_add_f16_e32 v49, v61, v49
	v_sub_f16_e32 v51, v51, v64
	v_sub_f16_e32 v30, v30, v63
	v_add_f16_e32 v50, v65, v50
	v_sub_f16_e32 v28, v28, v62
	v_add_f16_e32 v29, v60, v29
	;; [unrolled: 2-line block ×4, first 2 shown]
	v_sub_f16_e32 v55, v23, v20
	v_pack_b32_f16 v53, v53, v54
	v_pack_b32_f16 v54, v56, v58
	v_add_f16_e32 v56, v11, v24
	v_pack_b32_f16 v58, v59, v66
	v_pack_b32_f16 v49, v49, v51
	;; [unrolled: 1-line block ×4, first 2 shown]
	ds_write2_b32 v47, v10, v53 offset1:22
	ds_write2_b32 v47, v54, v58 offset0:44 offset1:66
	ds_write2_b32 v47, v49, v30 offset0:88 offset1:110
	ds_write_b32 v47, v28 offset:528
	s_and_saveexec_b32 s1, s0
	s_cbranch_execz .LBB0_11
; %bb.10:
	v_mov_b32_e32 v10, 0xba2f
	v_sub_f16_e32 v11, v24, v11
	v_add_f16_e32 v20, v20, v23
	v_mov_b32_e32 v23, 2
	v_sub_f16_e32 v22, v27, v22
	v_mul_u32_u24_sdwa v10, v26, v10 dst_sel:DWORD dst_unused:UNUSED_PAD src0_sel:WORD_0 src1_sel:DWORD
	v_add_f16_e32 v21, v21, v25
	v_perm_b32 v8, v9, v8, 0x5040100
	v_pack_b32_f16 v11, v20, v11
	v_perm_b32 v9, v57, v19, 0x5040100
	v_lshrrev_b32_e32 v10, 20, v10
	v_pack_b32_f16 v20, v21, v22
	v_perm_b32 v24, v48, v17, 0x5040100
	v_perm_b32 v21, v52, v18, 0x5040100
	;; [unrolled: 1-line block ×3, first 2 shown]
	v_mad_u16 v10, 0x9a, v10, v36
	v_lshlrev_b32_sdwa v10, v23, v10 dst_sel:DWORD dst_unused:UNUSED_PAD src0_sel:DWORD src1_sel:WORD_0
	ds_write2_b32 v10, v8, v11 offset1:22
	ds_write2_b32 v10, v20, v9 offset0:44 offset1:66
	ds_write2_b32 v10, v24, v21 offset0:88 offset1:110
	ds_write_b32 v10, v22 offset:528
.LBB0_11:
	s_or_b32 exec_lo, exec_lo, s1
	v_lshlrev_b32_e32 v49, 4, v32
	s_waitcnt lgkmcnt(0)
	s_barrier
	buffer_gl0_inv
	v_add_nc_u32_e32 v20, 0x400, v33
	global_load_dwordx4 v[8:11], v49, s[2:3] offset:572
	v_add_nc_u32_e32 v58, 0x900, v33
	v_add_nc_u32_e32 v69, 0xe00, v33
	v_add_nc_u32_e32 v70, 0x1200, v33
	ds_read2_b32 v[21:22], v33 offset1:154
	ds_read2_b32 v[23:24], v20 offset0:52 offset1:206
	ds_read2_b32 v[25:26], v58 offset0:40 offset1:194
	;; [unrolled: 1-line block ×4, first 2 shown]
	v_mul_i32_i24_e32 v51, -12, v32
	v_add_co_u32 v49, s1, s2, v49
	v_mul_hi_i32_i24_e32 v50, -12, v32
	v_add_co_ci_u32_e64 v53, null, s3, 0, s1
	v_add_co_u32 v51, s1, v49, v51
	s_waitcnt vmcnt(0) lgkmcnt(0)
	v_add_co_ci_u32_e64 v53, s1, v53, v50, s1
	v_add_co_u32 v49, s1, 0x800, v51
	s_barrier
	v_add_co_ci_u32_e64 v50, s1, 0, v53, s1
	v_lshrrev_b32_e32 v54, 16, v23
	v_lshrrev_b32_e32 v61, 16, v25
	;; [unrolled: 1-line block ×8, first 2 shown]
	v_add_co_u32 v59, s1, 0x1000, v51
	v_lshrrev_b32_e32 v51, 16, v21
	v_add_co_ci_u32_e64 v60, s1, 0, v53, s1
	v_lshrrev_b32_e32 v53, 16, v22
	buffer_gl0_inv
	v_mul_f16_sdwa v68, v54, v8 dst_sel:DWORD dst_unused:UNUSED_PAD src0_sel:DWORD src1_sel:WORD_1
	v_mul_f16_sdwa v71, v23, v8 dst_sel:DWORD dst_unused:UNUSED_PAD src0_sel:DWORD src1_sel:WORD_1
	;; [unrolled: 1-line block ×16, first 2 shown]
	v_fma_f16 v23, v23, v8, -v68
	v_fmac_f16_e32 v71, v54, v8
	v_fma_f16 v25, v25, v9, -v72
	v_fmac_f16_e32 v73, v61, v9
	;; [unrolled: 2-line block ×8, first 2 shown]
	v_add_f16_e32 v54, v21, v23
	v_add_f16_e32 v61, v25, v27
	v_sub_f16_e32 v64, v23, v25
	v_sub_f16_e32 v65, v29, v27
	v_add_f16_e32 v66, v23, v29
	v_add_f16_e32 v72, v51, v71
	;; [unrolled: 1-line block ×4, first 2 shown]
	v_sub_f16_e32 v62, v71, v77
	v_sub_f16_e32 v67, v25, v23
	;; [unrolled: 1-line block ×7, first 2 shown]
	v_add_f16_e32 v86, v22, v24
	v_add_f16_e32 v87, v26, v28
	;; [unrolled: 1-line block ×6, first 2 shown]
	v_sub_f16_e32 v23, v23, v29
	v_sub_f16_e32 v76, v25, v27
	v_add_f16_e32 v25, v54, v25
	v_fma_f16 v54, -0.5, v61, v21
	v_add_f16_e32 v61, v64, v65
	v_fma_f16 v21, -0.5, v66, v21
	;; [unrolled: 2-line block ×3, first 2 shown]
	v_sub_f16_e32 v63, v73, v75
	v_fmac_f16_e32 v51, -0.5, v82
	v_sub_f16_e32 v88, v79, v85
	v_sub_f16_e32 v89, v81, v83
	;; [unrolled: 1-line block ×6, first 2 shown]
	v_add_f16_e32 v64, v67, v68
	v_add_f16_e32 v67, v78, v80
	;; [unrolled: 1-line block ×4, first 2 shown]
	v_fma_f16 v71, -0.5, v87, v22
	v_fmac_f16_e32 v22, -0.5, v92
	v_add_f16_e32 v74, v95, v81
	v_fma_f16 v78, -0.5, v96, v53
	v_fmac_f16_e32 v53, -0.5, v100
	v_add_f16_e32 v25, v25, v27
	v_fmamk_f16 v27, v62, 0x3b9c, v54
	v_add_f16_e32 v65, v65, v75
	v_fmamk_f16 v75, v23, 0xbb9c, v66
	v_sub_f16_e32 v98, v79, v81
	v_sub_f16_e32 v79, v81, v79
	v_fmamk_f16 v81, v63, 0xbb9c, v21
	v_fmac_f16_e32 v21, 0x3b9c, v63
	v_fmamk_f16 v82, v76, 0x3b9c, v51
	v_fmac_f16_e32 v51, 0xbb9c, v76
	v_fmac_f16_e32 v54, 0xbb9c, v62
	;; [unrolled: 1-line block ×3, first 2 shown]
	v_sub_f16_e32 v91, v30, v28
	v_sub_f16_e32 v94, v28, v30
	;; [unrolled: 1-line block ×4, first 2 shown]
	v_add_f16_e32 v26, v26, v28
	v_fmamk_f16 v28, v88, 0x3b9c, v71
	v_fmamk_f16 v84, v89, 0xbb9c, v22
	v_add_f16_e32 v74, v74, v83
	v_fmamk_f16 v83, v24, 0xbb9c, v78
	v_fmamk_f16 v86, v97, 0x3b9c, v53
	v_fmac_f16_e32 v71, 0xbb9c, v88
	v_fmac_f16_e32 v22, 0x3b9c, v89
	;; [unrolled: 1-line block ×12, first 2 shown]
	v_add_f16_e32 v72, v90, v91
	v_add_f16_e32 v73, v93, v94
	v_add_f16_e32 v80, v98, v99
	v_add_f16_e32 v79, v79, v101
	v_fmac_f16_e32 v28, 0x38b4, v89
	v_fmac_f16_e32 v84, 0x38b4, v88
	;; [unrolled: 1-line block ×8, first 2 shown]
	v_add_f16_e32 v25, v25, v29
	v_add_f16_e32 v29, v65, v77
	v_fmac_f16_e32 v27, 0x34f2, v61
	v_fmac_f16_e32 v75, 0x34f2, v67
	v_add_f16_e32 v23, v26, v30
	v_add_f16_e32 v26, v74, v85
	v_fmac_f16_e32 v81, 0x34f2, v64
	v_fmac_f16_e32 v21, 0x34f2, v64
	;; [unrolled: 1-line block ×14, first 2 shown]
	v_pack_b32_f16 v24, v25, v29
	v_pack_b32_f16 v25, v27, v75
	;; [unrolled: 1-line block ×10, first 2 shown]
	ds_write2_b32 v33, v24, v25 offset1:154
	ds_write2_b32 v20, v26, v21 offset0:52 offset1:206
	ds_write2_b32 v58, v27, v23 offset0:40 offset1:194
	;; [unrolled: 1-line block ×4, first 2 shown]
	s_waitcnt lgkmcnt(0)
	s_barrier
	buffer_gl0_inv
	s_clause 0x4
	global_load_dword v54, v[49:50], off offset:988
	global_load_dword v53, v[49:50], off offset:1604
	global_load_dword v49, v[59:60], off offset:172
	global_load_dword v50, v[59:60], off offset:788
	global_load_dword v51, v[59:60], off offset:1404
	ds_read2_b32 v[66:67], v33 offset1:154
	ds_read2_b32 v[23:24], v58 offset0:40 offset1:194
	ds_read2_b32 v[21:22], v69 offset0:28 offset1:182
	;; [unrolled: 1-line block ×4, first 2 shown]
	s_waitcnt lgkmcnt(4)
	v_lshrrev_b32_e32 v27, 16, v66
	s_waitcnt lgkmcnt(3)
	v_lshrrev_b32_e32 v28, 16, v24
	;; [unrolled: 2-line block ×3, first 2 shown]
	v_lshrrev_b32_e32 v59, 16, v22
	s_waitcnt lgkmcnt(0)
	v_lshrrev_b32_e32 v60, 16, v25
	v_lshrrev_b32_e32 v61, 16, v26
	;; [unrolled: 1-line block ×6, first 2 shown]
	s_waitcnt vmcnt(4)
	v_mul_f16_sdwa v62, v28, v54 dst_sel:DWORD dst_unused:UNUSED_PAD src0_sel:DWORD src1_sel:WORD_1
	v_mul_f16_sdwa v64, v24, v54 dst_sel:DWORD dst_unused:UNUSED_PAD src0_sel:DWORD src1_sel:WORD_1
	s_waitcnt vmcnt(3)
	v_mul_f16_sdwa v68, v30, v53 dst_sel:DWORD dst_unused:UNUSED_PAD src0_sel:DWORD src1_sel:WORD_1
	v_mul_f16_sdwa v74, v21, v53 dst_sel:DWORD dst_unused:UNUSED_PAD src0_sel:DWORD src1_sel:WORD_1
	;; [unrolled: 3-line block ×5, first 2 shown]
	v_fma_f16 v24, v24, v54, -v62
	v_fmac_f16_e32 v64, v28, v54
	v_fma_f16 v21, v21, v53, -v68
	v_fmac_f16_e32 v74, v30, v53
	v_fma_f16 v30, v22, v49, -v75
	v_fmac_f16_e32 v76, v59, v49
	v_fma_f16 v25, v25, v50, -v77
	v_fmac_f16_e32 v78, v60, v50
	v_fma_f16 v59, v26, v51, -v79
	v_fmac_f16_e32 v80, v61, v51
	v_sub_f16_e32 v22, v66, v24
	v_sub_f16_e32 v64, v27, v64
	;; [unrolled: 1-line block ×10, first 2 shown]
	v_fma_f16 v21, v66, 2.0, -v22
	v_fma_f16 v66, v27, 2.0, -v64
	;; [unrolled: 1-line block ×10, first 2 shown]
	v_pack_b32_f16 v72, v28, v62
	v_pack_b32_f16 v73, v30, v61
	v_pack_b32_f16 v74, v26, v60
	v_pack_b32_f16 v75, v24, v59
	v_pack_b32_f16 v76, v21, v66
	v_pack_b32_f16 v77, v27, v68
	v_pack_b32_f16 v78, v29, v67
	v_pack_b32_f16 v79, v25, v65
	v_pack_b32_f16 v71, v22, v64
	v_pack_b32_f16 v80, v23, v63
	ds_write2_b32 v69, v72, v73 offset0:28 offset1:182
	ds_write2_b32 v70, v74, v75 offset0:80 offset1:234
	ds_write2_b32 v33, v76, v77 offset1:154
	ds_write2_b32 v20, v78, v79 offset0:52 offset1:206
	ds_write2_b32 v58, v80, v71 offset0:40 offset1:194
	s_waitcnt lgkmcnt(0)
	s_barrier
	buffer_gl0_inv
	s_and_saveexec_b32 s2, vcc_lo
	s_cbranch_execz .LBB0_13
; %bb.12:
	v_add_co_u32 v20, s1, s14, v31
	v_add_co_ci_u32_e64 v58, null, s15, 0, s1
	v_add_nc_u32_e32 v87, 0x200, v31
	v_add_co_u32 v69, s1, 0x1800, v20
	v_add_co_ci_u32_e64 v70, s1, 0, v58, s1
	v_add_nc_u32_e32 v88, 0x600, v31
	v_add_nc_u32_e32 v89, 0xa00, v31
	;; [unrolled: 1-line block ×3, first 2 shown]
	global_load_dword v73, v[69:70], off offset:16
	v_add_co_u32 v69, s1, 0x1810, v20
	v_add_co_ci_u32_e64 v70, s1, 0, v58, s1
	v_add_co_u32 v71, s1, 0x2000, v20
	v_add_co_ci_u32_e64 v72, s1, 0, v58, s1
	s_clause 0x6
	global_load_dword v79, v[69:70], off offset:560
	global_load_dword v80, v[69:70], off offset:1120
	;; [unrolled: 1-line block ×7, first 2 shown]
	v_add_co_u32 v69, s1, 0x2800, v20
	v_add_co_ci_u32_e64 v70, s1, 0, v58, s1
	s_clause 0x2
	global_load_dword v20, v[69:70], off offset:400
	global_load_dword v58, v[69:70], off offset:960
	;; [unrolled: 1-line block ×3, first 2 shown]
	ds_read_b32 v69, v33
	v_add_nc_u32_e32 v91, 0x1200, v31
	s_waitcnt lgkmcnt(0)
	v_lshrrev_b32_e32 v70, 16, v69
	s_waitcnt vmcnt(10)
	v_mul_f16_sdwa v71, v70, v73 dst_sel:DWORD dst_unused:UNUSED_PAD src0_sel:DWORD src1_sel:WORD_1
	v_mul_f16_sdwa v72, v69, v73 dst_sel:DWORD dst_unused:UNUSED_PAD src0_sel:DWORD src1_sel:WORD_1
	v_fma_f16 v69, v69, v73, -v71
	v_fmac_f16_e32 v72, v70, v73
	v_pack_b32_f16 v69, v69, v72
	ds_write_b32 v33, v69
	ds_read2_b32 v[69:70], v87 offset0:12 offset1:152
	ds_read2_b32 v[71:72], v88 offset0:36 offset1:176
	ds_read2_b32 v[73:74], v89 offset0:60 offset1:200
	ds_read2_b32 v[75:76], v90 offset0:84 offset1:224
	ds_read2_b32 v[77:78], v91 offset0:108 offset1:248
	s_waitcnt lgkmcnt(4)
	v_lshrrev_b32_e32 v92, 16, v69
	s_waitcnt vmcnt(9)
	v_mul_f16_sdwa v93, v69, v79 dst_sel:DWORD dst_unused:UNUSED_PAD src0_sel:DWORD src1_sel:WORD_1
	v_lshrrev_b32_e32 v94, 16, v70
	s_waitcnt vmcnt(8)
	v_mul_f16_sdwa v95, v70, v80 dst_sel:DWORD dst_unused:UNUSED_PAD src0_sel:DWORD src1_sel:WORD_1
	s_waitcnt lgkmcnt(3)
	v_lshrrev_b32_e32 v96, 16, v71
	s_waitcnt vmcnt(3)
	v_mul_f16_sdwa v97, v71, v85 dst_sel:DWORD dst_unused:UNUSED_PAD src0_sel:DWORD src1_sel:WORD_1
	v_lshrrev_b32_e32 v98, 16, v72
	v_mul_f16_sdwa v99, v72, v81 dst_sel:DWORD dst_unused:UNUSED_PAD src0_sel:DWORD src1_sel:WORD_1
	s_waitcnt lgkmcnt(2)
	v_lshrrev_b32_e32 v100, 16, v73
	v_mul_f16_sdwa v101, v73, v82 dst_sel:DWORD dst_unused:UNUSED_PAD src0_sel:DWORD src1_sel:WORD_1
	v_lshrrev_b32_e32 v102, 16, v74
	v_mul_f16_sdwa v103, v74, v83 dst_sel:DWORD dst_unused:UNUSED_PAD src0_sel:DWORD src1_sel:WORD_1
	s_waitcnt lgkmcnt(1)
	v_lshrrev_b32_e32 v104, 16, v75
	v_mul_f16_sdwa v105, v75, v84 dst_sel:DWORD dst_unused:UNUSED_PAD src0_sel:DWORD src1_sel:WORD_1
	v_lshrrev_b32_e32 v106, 16, v76
	s_waitcnt vmcnt(2)
	v_mul_f16_sdwa v107, v76, v20 dst_sel:DWORD dst_unused:UNUSED_PAD src0_sel:DWORD src1_sel:WORD_1
	s_waitcnt lgkmcnt(0)
	v_lshrrev_b32_e32 v108, 16, v77
	s_waitcnt vmcnt(1)
	v_mul_f16_sdwa v109, v77, v58 dst_sel:DWORD dst_unused:UNUSED_PAD src0_sel:DWORD src1_sel:WORD_1
	v_lshrrev_b32_e32 v110, 16, v78
	v_mul_f16_sdwa v112, v92, v79 dst_sel:DWORD dst_unused:UNUSED_PAD src0_sel:DWORD src1_sel:WORD_1
	v_fmac_f16_e32 v93, v92, v79
	v_mul_f16_sdwa v92, v94, v80 dst_sel:DWORD dst_unused:UNUSED_PAD src0_sel:DWORD src1_sel:WORD_1
	v_fmac_f16_e32 v95, v94, v80
	;; [unrolled: 2-line block ×7, first 2 shown]
	v_mul_f16_sdwa v104, v106, v20 dst_sel:DWORD dst_unused:UNUSED_PAD src0_sel:DWORD src1_sel:WORD_1
	s_waitcnt vmcnt(0)
	v_mul_f16_sdwa v111, v78, v86 dst_sel:DWORD dst_unused:UNUSED_PAD src0_sel:DWORD src1_sel:WORD_1
	v_fmac_f16_e32 v107, v106, v20
	v_mul_f16_sdwa v106, v108, v58 dst_sel:DWORD dst_unused:UNUSED_PAD src0_sel:DWORD src1_sel:WORD_1
	v_fmac_f16_e32 v109, v108, v58
	v_mul_f16_sdwa v108, v110, v86 dst_sel:DWORD dst_unused:UNUSED_PAD src0_sel:DWORD src1_sel:WORD_1
	v_fma_f16 v69, v69, v79, -v112
	v_fma_f16 v70, v70, v80, -v92
	;; [unrolled: 1-line block ×8, first 2 shown]
	v_fmac_f16_e32 v111, v110, v86
	v_fma_f16 v58, v77, v58, -v106
	v_fma_f16 v76, v78, v86, -v108
	v_pack_b32_f16 v69, v69, v93
	v_pack_b32_f16 v70, v70, v95
	;; [unrolled: 1-line block ×10, first 2 shown]
	ds_write2_b32 v87, v69, v70 offset0:12 offset1:152
	ds_write2_b32 v88, v71, v72 offset0:36 offset1:176
	;; [unrolled: 1-line block ×5, first 2 shown]
.LBB0_13:
	s_or_b32 exec_lo, exec_lo, s2
	s_waitcnt lgkmcnt(0)
	s_barrier
	buffer_gl0_inv
	s_and_saveexec_b32 s1, vcc_lo
	s_cbranch_execz .LBB0_15
; %bb.14:
	v_add_nc_u32_e32 v19, 0x400, v33
	v_add_nc_u32_e32 v20, 0x800, v33
	;; [unrolled: 1-line block ×3, first 2 shown]
	ds_read2_b32 v[21:22], v33 offset1:140
	ds_read2_b32 v[27:28], v19 offset0:24 offset1:164
	v_add_nc_u32_e32 v19, 0x1000, v33
	ds_read2_b32 v[29:30], v20 offset0:48 offset1:188
	ds_read2_b32 v[25:26], v23 offset0:72 offset1:212
	;; [unrolled: 1-line block ×3, first 2 shown]
	ds_read_b32 v19, v33 offset:5600
	s_waitcnt lgkmcnt(5)
	v_lshrrev_b32_e32 v66, 16, v21
	v_lshrrev_b32_e32 v64, 16, v22
	s_waitcnt lgkmcnt(4)
	v_lshrrev_b32_e32 v68, 16, v27
	v_lshrrev_b32_e32 v62, 16, v28
	;; [unrolled: 3-line block ×5, first 2 shown]
	s_waitcnt lgkmcnt(0)
	v_lshrrev_b32_e32 v57, 16, v19
.LBB0_15:
	s_or_b32 exec_lo, exec_lo, s1
	v_sub_f16_e32 v89, v64, v57
	v_add_f16_e32 v85, v57, v64
	v_add_f16_e32 v82, v19, v22
	v_sub_f16_e32 v94, v22, v19
	v_sub_f16_e32 v90, v68, v59
	v_mul_f16_e32 v69, 0xb853, v89
	v_mul_f16_e32 v70, 0x3abb, v85
	v_add_f16_e32 v86, v59, v68
	v_add_f16_e32 v83, v24, v27
	v_mul_f16_e32 v71, 0xbb47, v90
	v_fma_f16 v20, v82, 0x3abb, -v69
	v_fmamk_f16 v58, v94, 0xb853, v70
	v_sub_f16_e32 v95, v27, v24
	v_mul_f16_e32 v72, 0x36a6, v86
	v_sub_f16_e32 v91, v62, v63
	v_add_f16_e32 v87, v63, v62
	v_add_f16_e32 v20, v21, v20
	;; [unrolled: 1-line block ×3, first 2 shown]
	v_fma_f16 v74, v83, 0x36a6, -v71
	v_fmamk_f16 v76, v95, 0xbb47, v72
	v_add_f16_e32 v79, v23, v28
	v_sub_f16_e32 v96, v28, v23
	v_mul_f16_e32 v73, 0xbbeb, v91
	v_mul_f16_e32 v75, 0xb08e, v87
	v_sub_f16_e32 v92, v67, v60
	v_add_f16_e32 v88, v60, v67
	v_add_f16_e32 v20, v74, v20
	;; [unrolled: 1-line block ×3, first 2 shown]
	v_fma_f16 v76, v79, 0xb08e, -v73
	v_fmamk_f16 v80, v96, 0xbbeb, v75
	v_add_f16_e32 v74, v26, v29
	v_mul_f16_e32 v77, 0xba0c, v92
	v_sub_f16_e32 v98, v29, v26
	v_mul_f16_e32 v78, 0xb93d, v88
	v_sub_f16_e32 v93, v61, v65
	v_add_f16_e32 v84, v65, v61
	v_add_f16_e32 v20, v76, v20
	;; [unrolled: 1-line block ×3, first 2 shown]
	v_fma_f16 v99, v74, 0xb93d, -v77
	v_fmamk_f16 v100, v98, 0xba0c, v78
	v_add_f16_e32 v76, v25, v30
	v_sub_f16_e32 v97, v30, v25
	v_mul_f16_e32 v80, 0xb482, v93
	v_mul_f16_e32 v81, 0xbbad, v84
	v_add_f16_e32 v20, v99, v20
	v_add_f16_e32 v58, v100, v58
	v_fma_f16 v99, v76, 0xbbad, -v80
	v_fmamk_f16 v100, v97, 0xb482, v81
	s_barrier
	buffer_gl0_inv
	v_add_f16_e32 v20, v99, v20
	v_add_f16_e32 v58, v100, v58
	s_and_saveexec_b32 s1, vcc_lo
	s_cbranch_execz .LBB0_17
; %bb.16:
	v_mul_f16_e32 v99, 0xbb47, v94
	v_mul_f16_e32 v103, 0xba0c, v95
	;; [unrolled: 1-line block ×5, first 2 shown]
	v_fmamk_f16 v104, v85, 0x36a6, v99
	v_fmamk_f16 v108, v86, 0xb93d, v103
	v_fma_f16 v116, v82, 0x36a6, -v113
	v_mul_f16_e32 v111, 0x3beb, v98
	v_fmamk_f16 v112, v87, 0xbbad, v107
	v_add_f16_e32 v104, v66, v104
	v_fma_f16 v119, v83, 0xb93d, -v117
	v_add_f16_e32 v116, v21, v116
	v_mul_f16_e32 v120, 0x3482, v91
	v_fmamk_f16 v115, v88, 0xb08e, v111
	v_add_f16_e32 v104, v108, v104
	v_mul_f16_e32 v124, 0x3beb, v92
	v_add_f16_e32 v116, v119, v116
	v_fma_f16 v119, v79, 0xbbad, -v120
	v_mul_f16_e32 v118, 0x3853, v97
	v_add_f16_e32 v104, v112, v104
	v_mul_f16_e32 v127, 0x3853, v93
	v_mul_f16_e32 v123, 0x3482, v95
	v_add_f16_e32 v116, v119, v116
	v_fma_f16 v119, v74, 0xb08e, -v124
	v_add_f16_e32 v104, v115, v104
	v_mul_f16_e32 v115, 0xbbeb, v94
	v_fmamk_f16 v121, v84, 0x3abb, v118
	v_mul_f16_e32 v129, 0xbbeb, v89
	v_add_f16_e32 v116, v119, v116
	v_fma_f16 v119, v76, 0x3abb, -v127
	v_fmamk_f16 v122, v85, 0xb08e, v115
	v_fmamk_f16 v125, v86, 0xbbad, v123
	v_mul_f16_e32 v126, 0x3b47, v96
	v_add_f16_e32 v104, v121, v104
	v_add_f16_e32 v116, v119, v116
	;; [unrolled: 1-line block ×3, first 2 shown]
	v_fma_f16 v119, v82, 0xb08e, -v129
	v_mul_f16_e32 v121, 0x3482, v90
	v_mul_f16_e32 v128, 0xb853, v98
	;; [unrolled: 1-line block ×3, first 2 shown]
	v_add_f16_e32 v122, v125, v122
	v_fmamk_f16 v125, v87, 0x36a6, v126
	v_add_f16_e32 v119, v21, v119
	v_fma_f16 v131, v83, 0xbbad, -v121
	v_mul_f16_e32 v136, 0xb853, v92
	v_mul_f16_e32 v139, 0xba0c, v93
	v_add_f16_e32 v122, v125, v122
	v_fmamk_f16 v125, v88, 0x3abb, v128
	v_add_f16_e32 v119, v131, v119
	v_fma_f16 v131, v79, 0x36a6, -v132
	v_mul_f16_e32 v130, 0xba0c, v94
	v_mul_f16_e32 v141, 0xba0c, v89
	v_add_f16_e32 v122, v125, v122
	v_mul_f16_e32 v125, 0xba0c, v97
	v_add_f16_e32 v119, v131, v119
	v_fma_f16 v131, v74, 0x3abb, -v136
	v_fmamk_f16 v134, v85, 0xb93d, v130
	v_mul_f16_e32 v135, 0x3beb, v95
	v_fmamk_f16 v133, v84, 0xb93d, v125
	v_mul_f16_e32 v101, 0xb853, v94
	v_add_f16_e32 v119, v131, v119
	v_fma_f16 v131, v76, 0xb93d, -v139
	v_add_f16_e32 v134, v66, v134
	v_add_f16_e32 v122, v133, v122
	v_mul_f16_e32 v133, 0x3beb, v90
	v_fmamk_f16 v137, v86, 0xb08e, v135
	v_add_f16_e32 v119, v131, v119
	v_fma_f16 v131, v82, 0xb93d, -v141
	v_mul_f16_e32 v138, 0xb853, v96
	v_mul_f16_e32 v94, 0xb482, v94
	v_fma_f16 v142, v83, 0xb08e, -v133
	v_mul_f16_e32 v143, 0xb853, v91
	v_add_f16_e32 v131, v21, v131
	v_mul_f16_e32 v105, 0xbb47, v95
	v_add_f16_e32 v134, v137, v134
	v_fmamk_f16 v137, v87, 0x3abb, v138
	v_mul_f16_e32 v140, 0xb482, v98
	v_fmamk_f16 v145, v85, 0xbbad, v94
	v_mul_f16_e32 v95, 0x3853, v95
	v_add_f16_e32 v131, v142, v131
	v_fma_f16 v142, v79, 0x3abb, -v143
	v_mul_f16_e32 v146, 0xb482, v92
	v_mul_f16_e32 v109, 0xbbeb, v96
	v_add_f16_e32 v134, v137, v134
	v_fmamk_f16 v137, v88, 0xbbad, v140
	v_add_f16_e32 v145, v66, v145
	v_fmamk_f16 v147, v86, 0x3abb, v95
	v_mul_f16_e32 v96, 0xba0c, v96
	v_add_f16_e32 v131, v142, v131
	v_fma_f16 v142, v74, 0xbbad, -v146
	v_mul_f16_e32 v148, 0x3b47, v93
	v_mul_f16_e32 v108, 0xba0c, v98
	v_add_f16_e32 v134, v137, v134
	v_mul_f16_e32 v137, 0x3b47, v97
	v_add_f16_e32 v145, v147, v145
	v_fmamk_f16 v147, v87, 0xb93d, v96
	v_mul_f16_e32 v98, 0x3b47, v98
	v_add_f16_e32 v131, v142, v131
	v_fma_f16 v142, v76, 0x36a6, -v148
	v_mul_f16_e32 v89, 0xb482, v89
	v_fmamk_f16 v144, v84, 0x36a6, v137
	v_add_f16_e32 v145, v147, v145
	v_fmamk_f16 v147, v88, 0x36a6, v98
	v_add_f16_e32 v131, v142, v131
	v_fma_f16 v142, v82, 0xbbad, -v89
	v_mul_f16_e32 v90, 0x3853, v90
	v_add_f16_e32 v134, v144, v134
	v_add_f16_e32 v144, v147, v145
	v_fma_f16 v94, v85, 0xbbad, -v94
	v_add_f16_e32 v142, v21, v142
	v_fma_f16 v145, v83, 0x3abb, -v90
	v_mul_f16_e32 v91, 0xba0c, v91
	v_fmac_f16_e32 v89, 0xbbad, v82
	v_add_f16_e32 v94, v66, v94
	v_fma_f16 v95, v86, 0x3abb, -v95
	v_add_f16_e32 v142, v145, v142
	v_fma_f16 v145, v79, 0xb93d, -v91
	v_mul_f16_e32 v92, 0x3b47, v92
	v_add_f16_e32 v89, v21, v89
	v_fmac_f16_e32 v90, 0x3abb, v83
	v_add_f16_e32 v94, v95, v94
	v_fma_f16 v95, v87, 0xb93d, -v96
	v_add_f16_e32 v96, v145, v142
	v_fma_f16 v142, v74, 0x36a6, -v92
	v_mul_f16_e32 v93, 0xbbeb, v93
	v_add_f16_e32 v89, v90, v89
	v_fmac_f16_e32 v91, 0xb93d, v79
	v_mul_f16_e32 v112, 0xb482, v97
	v_mul_f16_e32 v97, 0xbbeb, v97
	v_add_f16_e32 v94, v95, v94
	v_fma_f16 v95, v88, 0x36a6, -v98
	v_add_f16_e32 v96, v142, v96
	v_fma_f16 v98, v76, 0xb08e, -v93
	v_add_f16_e32 v89, v91, v89
	v_fmac_f16_e32 v92, 0x36a6, v74
	v_add_f16_e32 v22, v22, v21
	v_add_f16_e32 v64, v64, v66
	v_add_f16_e32 v94, v95, v94
	v_fma_f16 v95, v84, 0xb08e, -v97
	v_add_f16_e32 v90, v98, v96
	v_fma_f16 v96, v85, 0xb93d, -v130
	v_fmac_f16_e32 v141, 0xb93d, v82
	v_add_f16_e32 v89, v92, v89
	v_fmac_f16_e32 v93, 0xb08e, v76
	v_add_f16_e32 v22, v27, v22
	v_add_f16_e32 v27, v68, v64
	;; [unrolled: 1-line block ×4, first 2 shown]
	v_fma_f16 v95, v86, 0xb08e, -v135
	v_add_f16_e32 v96, v21, v141
	v_fmac_f16_e32 v133, 0xb08e, v83
	v_add_f16_e32 v89, v93, v89
	v_fma_f16 v93, v85, 0xb08e, -v115
	v_fma_f16 v85, v85, 0x36a6, -v99
	v_add_f16_e32 v22, v28, v22
	v_add_f16_e32 v27, v62, v27
	v_mul_f16_e32 v100, 0x3abb, v82
	v_add_f16_e32 v91, v95, v91
	v_add_f16_e32 v95, v133, v96
	;; [unrolled: 1-line block ×3, first 2 shown]
	v_fma_f16 v96, v86, 0xbbad, -v123
	v_add_f16_e32 v85, v66, v85
	v_fma_f16 v86, v86, 0xb93d, -v103
	v_add_f16_e32 v22, v29, v22
	v_add_f16_e32 v27, v67, v27
	v_mul_f16_e32 v102, 0x36a6, v83
	v_fma_f16 v92, v87, 0x3abb, -v138
	v_fmac_f16_e32 v129, 0xb08e, v82
	v_add_f16_e32 v93, v96, v93
	v_fma_f16 v96, v87, 0x36a6, -v126
	v_add_f16_e32 v85, v86, v85
	v_fma_f16 v86, v87, 0xbbad, -v107
	v_fmac_f16_e32 v113, 0x36a6, v82
	v_sub_f16_e32 v68, v70, v101
	v_add_f16_e32 v28, v100, v69
	v_add_f16_e32 v22, v30, v22
	;; [unrolled: 1-line block ×3, first 2 shown]
	v_mul_f16_e32 v106, 0xb08e, v79
	v_fmamk_f16 v147, v84, 0xb08e, v97
	v_add_f16_e32 v91, v92, v91
	v_fma_f16 v92, v88, 0xbbad, -v140
	v_add_f16_e32 v97, v21, v129
	v_add_f16_e32 v93, v96, v93
	v_fma_f16 v96, v88, 0x3abb, -v128
	v_add_f16_e32 v85, v86, v85
	v_fma_f16 v86, v88, 0xb08e, -v111
	v_add_f16_e32 v88, v21, v113
	v_add_f16_e32 v62, v66, v68
	v_sub_f16_e32 v66, v72, v105
	v_add_f16_e32 v21, v21, v28
	v_add_f16_e32 v28, v102, v71
	;; [unrolled: 1-line block ×4, first 2 shown]
	v_mul_f16_e32 v110, 0xb93d, v74
	v_fmac_f16_e32 v121, 0xbbad, v83
	v_fmac_f16_e32 v117, 0xb93d, v83
	v_add_f16_e32 v29, v66, v62
	v_sub_f16_e32 v30, v75, v109
	v_add_f16_e32 v21, v28, v21
	v_add_f16_e32 v28, v106, v73
	;; [unrolled: 1-line block ×4, first 2 shown]
	v_mul_f16_e32 v114, 0xbbad, v76
	v_add_f16_e32 v97, v121, v97
	v_fmac_f16_e32 v132, 0x36a6, v79
	v_add_f16_e32 v83, v86, v85
	v_add_f16_e32 v85, v117, v88
	v_fmac_f16_e32 v120, 0xbbad, v79
	v_add_f16_e32 v27, v30, v29
	v_sub_f16_e32 v29, v78, v108
	v_add_f16_e32 v21, v28, v21
	v_add_f16_e32 v26, v110, v77
	;; [unrolled: 1-line block ×4, first 2 shown]
	v_fmac_f16_e32 v143, 0x3abb, v79
	v_add_f16_e32 v97, v132, v97
	v_fmac_f16_e32 v136, 0x3abb, v74
	v_add_f16_e32 v70, v120, v85
	v_add_f16_e32 v27, v29, v27
	v_sub_f16_e32 v28, v81, v112
	v_add_f16_e32 v21, v26, v21
	v_add_f16_e32 v25, v114, v80
	v_fmac_f16_e32 v124, 0xb08e, v74
	v_add_f16_e32 v22, v24, v22
	v_add_f16_e32 v23, v59, v23
	;; [unrolled: 1-line block ×3, first 2 shown]
	v_fmac_f16_e32 v146, 0xbbad, v74
	v_add_f16_e32 v93, v96, v93
	v_fma_f16 v96, v84, 0xb93d, -v125
	v_add_f16_e32 v82, v136, v97
	v_fmac_f16_e32 v139, 0xb93d, v76
	v_fma_f16 v64, v84, 0x3abb, -v118
	v_add_f16_e32 v24, v28, v27
	v_add_f16_e32 v21, v25, v21
	v_mov_b32_e32 v25, 2
	v_add_f16_e32 v19, v19, v22
	v_add_f16_e32 v22, v57, v23
	;; [unrolled: 1-line block ×3, first 2 shown]
	v_fmac_f16_e32 v127, 0x3abb, v76
	v_add_f16_e32 v91, v92, v91
	v_fma_f16 v92, v84, 0x36a6, -v137
	v_add_f16_e32 v95, v146, v95
	v_fmac_f16_e32 v148, 0x36a6, v76
	v_add_f16_e32 v87, v96, v93
	v_add_f16_e32 v82, v139, v82
	v_lshlrev_b32_sdwa v25, v25, v34 dst_sel:DWORD dst_unused:UNUSED_PAD src0_sel:DWORD src1_sel:WORD_0
	v_pack_b32_f16 v21, v21, v24
	v_pack_b32_f16 v19, v19, v22
	v_add_f16_e32 v22, v64, v83
	v_add_f16_e32 v23, v127, v23
	;; [unrolled: 1-line block ×5, first 2 shown]
	ds_write2_b32 v25, v19, v21 offset1:1
	v_pack_b32_f16 v19, v82, v87
	v_pack_b32_f16 v21, v23, v22
	;; [unrolled: 1-line block ×8, first 2 shown]
	v_perm_b32 v29, v58, v20, 0x5040100
	ds_write2_b32 v25, v21, v19 offset0:2 offset1:3
	ds_write2_b32 v25, v23, v22 offset0:4 offset1:5
	;; [unrolled: 1-line block ×4, first 2 shown]
	ds_write_b32 v25, v29 offset:40
.LBB0_17:
	s_or_b32 exec_lo, exec_lo, s1
	v_add_nc_u32_e32 v57, 0x900, v33
	v_add_nc_u32_e32 v19, 0xe00, v33
	;; [unrolled: 1-line block ×3, first 2 shown]
	s_waitcnt lgkmcnt(0)
	s_barrier
	buffer_gl0_inv
	ds_read2_b32 v[21:22], v33 offset1:154
	ds_read2_b32 v[23:24], v57 offset0:40 offset1:194
	v_add_nc_u32_e32 v29, 0x1200, v33
	ds_read2_b32 v[25:26], v19 offset0:28 offset1:182
	ds_read2_b32 v[27:28], v27 offset0:52 offset1:206
	;; [unrolled: 1-line block ×3, first 2 shown]
	s_waitcnt lgkmcnt(0)
	s_barrier
	buffer_gl0_inv
	v_lshrrev_b32_e32 v19, 16, v21
	v_lshrrev_b32_e32 v59, 16, v24
	v_mul_f16_sdwa v67, v39, v24 dst_sel:DWORD dst_unused:UNUSED_PAD src0_sel:WORD_1 src1_sel:DWORD
	v_lshrrev_b32_e32 v60, 16, v25
	v_lshrrev_b32_e32 v62, 16, v26
	v_mul_f16_sdwa v68, v40, v25 dst_sel:DWORD dst_unused:UNUSED_PAD src0_sel:WORD_1 src1_sel:DWORD
	v_lshrrev_b32_e32 v64, 16, v29
	v_mul_f16_sdwa v71, v39, v59 dst_sel:DWORD dst_unused:UNUSED_PAD src0_sel:WORD_1 src1_sel:DWORD
	v_lshrrev_b32_e32 v66, 16, v30
	v_fma_f16 v59, v39, v59, -v67
	v_mul_f16_sdwa v67, v40, v60 dst_sel:DWORD dst_unused:UNUSED_PAD src0_sel:WORD_1 src1_sel:DWORD
	v_mul_f16_sdwa v69, v41, v26 dst_sel:DWORD dst_unused:UNUSED_PAD src0_sel:WORD_1 src1_sel:DWORD
	v_fma_f16 v60, v40, v60, -v68
	v_mul_f16_sdwa v68, v41, v62 dst_sel:DWORD dst_unused:UNUSED_PAD src0_sel:WORD_1 src1_sel:DWORD
	v_mul_f16_sdwa v70, v38, v29 dst_sel:DWORD dst_unused:UNUSED_PAD src0_sel:WORD_1 src1_sel:DWORD
	;; [unrolled: 1-line block ×3, first 2 shown]
	v_fmac_f16_e32 v71, v39, v24
	v_mul_f16_sdwa v73, v37, v66 dst_sel:DWORD dst_unused:UNUSED_PAD src0_sel:WORD_1 src1_sel:DWORD
	v_fmac_f16_e32 v67, v40, v25
	v_mul_f16_sdwa v25, v37, v30 dst_sel:DWORD dst_unused:UNUSED_PAD src0_sel:WORD_1 src1_sel:DWORD
	v_lshrrev_b32_e32 v34, 16, v22
	v_lshrrev_b32_e32 v61, 16, v27
	v_fmac_f16_e32 v68, v41, v26
	v_fma_f16 v24, v41, v62, -v69
	v_lshrrev_b32_e32 v63, 16, v28
	v_fmac_f16_e32 v72, v38, v29
	v_fma_f16 v26, v38, v64, -v70
	v_sub_f16_e32 v38, v21, v71
	v_lshrrev_b32_e32 v65, 16, v23
	v_fmac_f16_e32 v73, v37, v30
	v_fma_f16 v25, v37, v66, -v25
	v_sub_f16_e32 v37, v19, v59
	v_sub_f16_e32 v39, v22, v67
	;; [unrolled: 1-line block ×5, first 2 shown]
	v_fma_f16 v41, v21, 2.0, -v38
	v_sub_f16_e32 v21, v28, v72
	v_sub_f16_e32 v29, v63, v26
	v_fma_f16 v60, v19, 2.0, -v37
	v_sub_f16_e32 v19, v23, v73
	v_sub_f16_e32 v30, v65, v25
	v_fma_f16 v62, v22, 2.0, -v39
	v_fma_f16 v64, v34, 2.0, -v40
	;; [unrolled: 1-line block ×8, first 2 shown]
	v_pack_b32_f16 v23, v41, v60
	v_pack_b32_f16 v37, v38, v37
	;; [unrolled: 1-line block ×10, first 2 shown]
	ds_write2_b32 v46, v23, v37 offset1:11
	ds_write2_b32 v42, v38, v39 offset1:11
	;; [unrolled: 1-line block ×5, first 2 shown]
	v_add_nc_u32_e32 v25, 0x680, v33
	v_add_nc_u32_e32 v26, 0xd80, v33
	s_waitcnt lgkmcnt(0)
	s_barrier
	buffer_gl0_inv
	ds_read2_b32 v[23:24], v33 offset1:220
	ds_read2_b32 v[27:28], v25 offset0:24 offset1:244
	ds_read2_b32 v[25:26], v26 offset0:16 offset1:236
	ds_read_b32 v37, v33 offset:5280
	s_and_saveexec_b32 s1, s0
	s_cbranch_execz .LBB0_19
; %bb.18:
	v_add_nc_u32_e32 v17, 0x200, v33
	v_add_nc_u32_e32 v18, 0x1000, v33
	ds_read2_b32 v[19:20], v57 offset0:18 offset1:238
	ds_read2_b32 v[21:22], v17 offset0:26 offset1:246
	;; [unrolled: 1-line block ×3, first 2 shown]
	ds_read_b32 v55, v33 offset:5896
	s_waitcnt lgkmcnt(3)
	v_lshrrev_b32_e32 v30, 16, v19
	v_lshrrev_b32_e32 v58, 16, v20
	s_waitcnt lgkmcnt(2)
	v_lshrrev_b32_e32 v29, 16, v21
	v_lshrrev_b32_e32 v34, 16, v22
	;; [unrolled: 3-line block ×3, first 2 shown]
	s_waitcnt lgkmcnt(0)
	v_lshrrev_b32_e32 v56, 16, v55
.LBB0_19:
	s_or_b32 exec_lo, exec_lo, s1
	s_waitcnt lgkmcnt(3)
	v_lshrrev_b32_e32 v38, 16, v24
	s_waitcnt lgkmcnt(2)
	v_lshrrev_b32_e32 v39, 16, v27
	v_lshrrev_b32_e32 v40, 16, v28
	v_mul_f16_sdwa v41, v4, v24 dst_sel:DWORD dst_unused:UNUSED_PAD src0_sel:WORD_1 src1_sel:DWORD
	s_waitcnt lgkmcnt(1)
	v_lshrrev_b32_e32 v42, 16, v25
	v_mul_f16_sdwa v43, v4, v38 dst_sel:DWORD dst_unused:UNUSED_PAD src0_sel:WORD_1 src1_sel:DWORD
	v_lshrrev_b32_e32 v44, 16, v26
	s_waitcnt lgkmcnt(0)
	v_lshrrev_b32_e32 v45, 16, v37
	v_fma_f16 v38, v4, v38, -v41
	v_mul_f16_sdwa v41, v5, v39 dst_sel:DWORD dst_unused:UNUSED_PAD src0_sel:WORD_1 src1_sel:DWORD
	v_fmac_f16_e32 v43, v4, v24
	v_mul_f16_sdwa v4, v5, v27 dst_sel:DWORD dst_unused:UNUSED_PAD src0_sel:WORD_1 src1_sel:DWORD
	v_mul_f16_sdwa v24, v6, v40 dst_sel:DWORD dst_unused:UNUSED_PAD src0_sel:WORD_1 src1_sel:DWORD
	;; [unrolled: 1-line block ×4, first 2 shown]
	v_fmac_f16_e32 v41, v5, v27
	v_fma_f16 v4, v5, v39, -v4
	v_fmac_f16_e32 v24, v6, v28
	v_fma_f16 v5, v6, v40, -v46
	v_mul_f16_sdwa v6, v16, v45 dst_sel:DWORD dst_unused:UNUSED_PAD src0_sel:WORD_1 src1_sel:DWORD
	v_mul_f16_sdwa v27, v16, v37 dst_sel:DWORD dst_unused:UNUSED_PAD src0_sel:WORD_1 src1_sel:DWORD
	;; [unrolled: 1-line block ×4, first 2 shown]
	v_fmac_f16_e32 v57, v7, v25
	v_mul_f16_sdwa v25, v7, v25 dst_sel:DWORD dst_unused:UNUSED_PAD src0_sel:WORD_1 src1_sel:DWORD
	v_fmac_f16_e32 v6, v16, v37
	v_fma_f16 v16, v16, v45, -v27
	v_fmac_f16_e32 v28, v15, v26
	v_fma_f16 v15, v15, v44, -v39
	v_fma_f16 v7, v7, v42, -v25
	v_add_f16_e32 v25, v43, v6
	v_add_f16_e32 v26, v38, v16
	;; [unrolled: 1-line block ×4, first 2 shown]
	v_sub_f16_e32 v16, v38, v16
	v_sub_f16_e32 v28, v41, v28
	;; [unrolled: 1-line block ×3, first 2 shown]
	v_add_f16_e32 v15, v24, v57
	v_add_f16_e32 v38, v5, v7
	v_sub_f16_e32 v24, v57, v24
	v_sub_f16_e32 v5, v7, v5
	v_add_f16_e32 v7, v27, v25
	v_add_f16_e32 v39, v37, v26
	v_sub_f16_e32 v6, v43, v6
	v_sub_f16_e32 v40, v27, v25
	;; [unrolled: 1-line block ×7, first 2 shown]
	v_add_f16_e32 v42, v24, v28
	v_add_f16_e32 v43, v5, v4
	v_sub_f16_e32 v44, v24, v28
	v_sub_f16_e32 v45, v5, v4
	v_add_f16_e32 v7, v15, v7
	v_add_f16_e32 v15, v38, v39
	v_sub_f16_e32 v28, v28, v6
	v_sub_f16_e32 v4, v4, v16
	;; [unrolled: 1-line block ×4, first 2 shown]
	v_add_f16_e32 v6, v42, v6
	v_add_f16_e32 v16, v43, v16
	;; [unrolled: 1-line block ×3, first 2 shown]
	v_add_f16_sdwa v23, v23, v15 dst_sel:DWORD dst_unused:UNUSED_PAD src0_sel:WORD_1 src1_sel:DWORD
	v_mul_f16_e32 v25, 0x3a52, v25
	v_mul_f16_e32 v26, 0x3a52, v26
	;; [unrolled: 1-line block ×8, first 2 shown]
	v_fmamk_f16 v7, v7, 0xbcab, v38
	v_fmamk_f16 v15, v15, 0xbcab, v23
	;; [unrolled: 1-line block ×4, first 2 shown]
	v_fma_f16 v39, v40, 0x39e0, -v39
	v_fma_f16 v42, v41, 0x39e0, -v42
	;; [unrolled: 1-line block ×4, first 2 shown]
	v_fmamk_f16 v40, v24, 0xb574, v43
	v_fmamk_f16 v41, v5, 0xb574, v44
	v_fma_f16 v28, v28, 0xbb00, -v43
	v_fma_f16 v4, v4, 0xbb00, -v44
	;; [unrolled: 1-line block ×4, first 2 shown]
	v_add_f16_e32 v27, v27, v7
	v_add_f16_e32 v37, v37, v15
	v_fmac_f16_e32 v40, 0xb70e, v6
	v_fmac_f16_e32 v41, 0xb70e, v16
	v_add_f16_e32 v39, v39, v7
	v_add_f16_e32 v42, v42, v15
	;; [unrolled: 1-line block ×4, first 2 shown]
	v_fmac_f16_e32 v28, 0xb70e, v6
	v_fmac_f16_e32 v5, 0xb70e, v16
	;; [unrolled: 1-line block ×4, first 2 shown]
	v_add_f16_e32 v6, v41, v27
	v_sub_f16_e32 v16, v37, v40
	v_add_f16_e32 v25, v5, v7
	v_sub_f16_e32 v26, v15, v24
	v_sub_f16_e32 v43, v39, v4
	v_add_f16_e32 v44, v28, v42
	v_add_f16_e32 v4, v4, v39
	v_sub_f16_e32 v28, v42, v28
	v_sub_f16_e32 v5, v7, v5
	v_add_f16_e32 v7, v24, v15
	v_sub_f16_e32 v15, v27, v41
	v_add_f16_e32 v24, v40, v37
	v_pack_b32_f16 v23, v38, v23
	v_pack_b32_f16 v6, v6, v16
	;; [unrolled: 1-line block ×7, first 2 shown]
	s_barrier
	buffer_gl0_inv
	ds_write2_b32 v47, v23, v6 offset1:22
	ds_write2_b32 v47, v16, v25 offset0:44 offset1:66
	ds_write2_b32 v47, v4, v5 offset0:88 offset1:110
	ds_write_b32 v47, v7 offset:528
	s_and_saveexec_b32 s1, s0
	s_cbranch_execz .LBB0_21
; %bb.20:
	v_mul_f16_sdwa v4, v0, v34 dst_sel:DWORD dst_unused:UNUSED_PAD src0_sel:WORD_1 src1_sel:DWORD
	v_mul_f16_sdwa v7, v1, v30 dst_sel:DWORD dst_unused:UNUSED_PAD src0_sel:WORD_1 src1_sel:DWORD
	;; [unrolled: 1-line block ×6, first 2 shown]
	v_fmac_f16_e32 v7, v1, v19
	v_fmac_f16_e32 v15, v13, v18
	;; [unrolled: 1-line block ×3, first 2 shown]
	v_mul_f16_sdwa v25, v14, v55 dst_sel:DWORD dst_unused:UNUSED_PAD src0_sel:WORD_1 src1_sel:DWORD
	v_mul_f16_sdwa v22, v0, v22 dst_sel:DWORD dst_unused:UNUSED_PAD src0_sel:WORD_1 src1_sel:DWORD
	;; [unrolled: 1-line block ×4, first 2 shown]
	v_fmac_f16_e32 v5, v3, v17
	v_fmac_f16_e32 v6, v2, v20
	;; [unrolled: 1-line block ×3, first 2 shown]
	v_fma_f16 v14, v14, v56, -v25
	v_fma_f16 v0, v0, v34, -v22
	v_mul_f16_sdwa v20, v2, v20 dst_sel:DWORD dst_unused:UNUSED_PAD src0_sel:WORD_1 src1_sel:DWORD
	v_mul_f16_sdwa v17, v3, v17 dst_sel:DWORD dst_unused:UNUSED_PAD src0_sel:WORD_1 src1_sel:DWORD
	v_fma_f16 v13, v13, v52, -v18
	v_fma_f16 v1, v1, v30, -v19
	v_sub_f16_e32 v23, v5, v6
	v_sub_f16_e32 v24, v7, v15
	;; [unrolled: 1-line block ×3, first 2 shown]
	v_add_f16_e32 v19, v14, v0
	v_fma_f16 v2, v2, v58, -v20
	v_fma_f16 v3, v3, v48, -v17
	v_add_f16_e32 v17, v13, v1
	v_sub_f16_e32 v27, v23, v24
	v_sub_f16_e32 v25, v26, v23
	v_add_f16_e32 v18, v23, v24
	v_add_f16_e32 v22, v2, v3
	;; [unrolled: 1-line block ×6, first 2 shown]
	v_sub_f16_e32 v28, v19, v22
	v_add_f16_e32 v23, v22, v23
	v_sub_f16_e32 v15, v22, v17
	v_add_f16_e32 v22, v7, v4
	v_sub_f16_e32 v2, v3, v2
	v_sub_f16_e32 v1, v1, v13
	v_add_f16_e32 v6, v29, v23
	v_sub_f16_e32 v29, v4, v5
	;; [unrolled: 3-line block ×3, first 2 shown]
	v_sub_f16_e32 v24, v24, v26
	v_mul_f16_e32 v16, 0x3a52, v28
	v_mul_f16_e32 v3, 0x3a52, v29
	v_sub_f16_e32 v5, v5, v7
	v_sub_f16_e32 v29, v0, v2
	v_add_f16_e32 v2, v2, v1
	v_sub_f16_e32 v17, v17, v19
	v_sub_f16_e32 v1, v1, v0
	v_mul_f16_e32 v27, 0x3846, v27
	v_mul_f16_e32 v28, 0x2b26, v15
	v_add_f16_e32 v13, v21, v22
	v_mul_f16_e32 v14, 0x3846, v14
	v_mul_f16_e32 v34, 0xbb00, v24
	v_fmamk_f16 v15, v15, 0x2b26, v16
	v_fmamk_f16 v21, v5, 0x2b26, v3
	v_mul_f16_e32 v5, 0x2b26, v5
	v_sub_f16_e32 v4, v7, v4
	v_fma_f16 v7, v17, 0xb9e0, -v16
	v_mul_f16_e32 v16, 0xbb00, v1
	v_fmamk_f16 v20, v25, 0xb574, v27
	v_add_f16_e32 v18, v18, v26
	v_fmamk_f16 v23, v23, 0xbcab, v6
	v_fmamk_f16 v22, v22, 0xbcab, v13
	;; [unrolled: 1-line block ×3, first 2 shown]
	v_add_f16_e32 v0, v2, v0
	v_fma_f16 v2, v25, 0x3574, -v34
	v_fma_f16 v17, v17, 0x39e0, -v28
	;; [unrolled: 1-line block ×7, first 2 shown]
	v_fmac_f16_e32 v20, 0xb70e, v18
	v_add_f16_e32 v15, v15, v23
	v_add_f16_e32 v21, v21, v22
	v_fmac_f16_e32 v26, 0xb70e, v0
	v_fmac_f16_e32 v2, 0xb70e, v18
	v_add_f16_e32 v7, v7, v23
	v_add_f16_e32 v5, v17, v23
	v_fmac_f16_e32 v19, 0xb70e, v18
	v_add_f16_e32 v3, v3, v22
	v_fmac_f16_e32 v16, 0xb70e, v0
	v_fmac_f16_e32 v1, 0xb70e, v0
	v_add_f16_e32 v0, v4, v22
	v_add_f16_e32 v30, v20, v15
	;; [unrolled: 1-line block ×3, first 2 shown]
	v_sub_f16_e32 v18, v5, v19
	v_add_f16_e32 v5, v19, v5
	v_sub_f16_e32 v2, v7, v2
	v_mad_u16 v7, 0x9a, v35, v36
	v_mov_b32_e32 v19, 2
	v_sub_f16_e32 v15, v15, v20
	v_add_f16_e32 v20, v26, v21
	v_sub_f16_e32 v17, v3, v16
	v_add_f16_e32 v22, v1, v0
	v_add_f16_e32 v3, v16, v3
	v_sub_f16_e32 v0, v0, v1
	v_sub_f16_e32 v4, v21, v26
	v_lshlrev_b32_sdwa v1, v19, v7 dst_sel:DWORD dst_unused:UNUSED_PAD src0_sel:DWORD src1_sel:WORD_0
	v_pack_b32_f16 v6, v13, v6
	v_pack_b32_f16 v7, v20, v15
	;; [unrolled: 1-line block ×7, first 2 shown]
	ds_write2_b32 v1, v6, v7 offset1:22
	ds_write2_b32 v1, v2, v0 offset0:44 offset1:66
	ds_write2_b32 v1, v3, v5 offset0:88 offset1:110
	ds_write_b32 v1, v4 offset:528
.LBB0_21:
	s_or_b32 exec_lo, exec_lo, s1
	v_add_nc_u32_e32 v15, 0x400, v33
	v_add_nc_u32_e32 v16, 0x900, v33
	v_add_nc_u32_e32 v17, 0xe00, v33
	v_add_nc_u32_e32 v18, 0x1200, v33
	s_waitcnt lgkmcnt(0)
	s_barrier
	buffer_gl0_inv
	ds_read2_b32 v[0:1], v33 offset1:154
	ds_read2_b32 v[2:3], v15 offset0:52 offset1:206
	ds_read2_b32 v[4:5], v16 offset0:40 offset1:194
	;; [unrolled: 1-line block ×4, first 2 shown]
	s_waitcnt lgkmcnt(0)
	s_barrier
	buffer_gl0_inv
	v_lshrrev_b32_e32 v21, 16, v2
	v_lshrrev_b32_e32 v22, 16, v4
	;; [unrolled: 1-line block ×3, first 2 shown]
	v_mul_f16_sdwa v28, v8, v2 dst_sel:DWORD dst_unused:UNUSED_PAD src0_sel:WORD_1 src1_sel:DWORD
	v_mul_f16_sdwa v30, v9, v4 dst_sel:DWORD dst_unused:UNUSED_PAD src0_sel:WORD_1 src1_sel:DWORD
	v_lshrrev_b32_e32 v24, 16, v13
	v_lshrrev_b32_e32 v25, 16, v3
	v_mul_f16_sdwa v35, v8, v21 dst_sel:DWORD dst_unused:UNUSED_PAD src0_sel:WORD_1 src1_sel:DWORD
	v_fma_f16 v21, v8, v21, -v28
	v_mul_f16_sdwa v28, v9, v22 dst_sel:DWORD dst_unused:UNUSED_PAD src0_sel:WORD_1 src1_sel:DWORD
	v_fma_f16 v22, v9, v22, -v30
	v_mul_f16_sdwa v30, v10, v23 dst_sel:DWORD dst_unused:UNUSED_PAD src0_sel:WORD_1 src1_sel:DWORD
	v_lshrrev_b32_e32 v26, 16, v5
	v_mul_f16_sdwa v34, v10, v6 dst_sel:DWORD dst_unused:UNUSED_PAD src0_sel:WORD_1 src1_sel:DWORD
	v_mul_f16_sdwa v36, v11, v24 dst_sel:DWORD dst_unused:UNUSED_PAD src0_sel:WORD_1 src1_sel:DWORD
	v_fmac_f16_e32 v35, v8, v2
	v_fmac_f16_e32 v28, v9, v4
	v_fmac_f16_e32 v30, v10, v6
	v_mul_f16_sdwa v2, v11, v13 dst_sel:DWORD dst_unused:UNUSED_PAD src0_sel:WORD_1 src1_sel:DWORD
	v_mul_f16_sdwa v4, v8, v25 dst_sel:DWORD dst_unused:UNUSED_PAD src0_sel:WORD_1 src1_sel:DWORD
	;; [unrolled: 1-line block ×3, first 2 shown]
	v_lshrrev_b32_e32 v27, 16, v7
	v_lshrrev_b32_e32 v29, 16, v14
	v_fma_f16 v23, v10, v23, -v34
	v_fmac_f16_e32 v36, v11, v13
	v_mul_f16_sdwa v13, v9, v26 dst_sel:DWORD dst_unused:UNUSED_PAD src0_sel:WORD_1 src1_sel:DWORD
	v_mul_f16_sdwa v34, v9, v5 dst_sel:DWORD dst_unused:UNUSED_PAD src0_sel:WORD_1 src1_sel:DWORD
	v_fma_f16 v2, v11, v24, -v2
	v_fmac_f16_e32 v4, v8, v3
	v_fma_f16 v3, v8, v25, -v6
	v_add_f16_e32 v6, v28, v30
	v_lshrrev_b32_e32 v19, 16, v0
	v_fmac_f16_e32 v13, v9, v5
	v_fma_f16 v5, v9, v26, -v34
	v_mul_f16_sdwa v8, v10, v27 dst_sel:DWORD dst_unused:UNUSED_PAD src0_sel:WORD_1 src1_sel:DWORD
	v_mul_f16_sdwa v9, v10, v7 dst_sel:DWORD dst_unused:UNUSED_PAD src0_sel:WORD_1 src1_sel:DWORD
	;; [unrolled: 1-line block ×3, first 2 shown]
	v_add_f16_e32 v25, v0, v35
	v_fma_f16 v6, -0.5, v6, v0
	v_sub_f16_e32 v26, v21, v2
	v_add_f16_e32 v37, v35, v36
	v_fmac_f16_e32 v8, v10, v7
	v_fma_f16 v7, v10, v27, -v9
	v_fmac_f16_e32 v24, v11, v14
	v_add_f16_e32 v9, v25, v28
	v_fmamk_f16 v10, v26, 0xbb9c, v6
	v_sub_f16_e32 v25, v22, v23
	v_sub_f16_e32 v27, v35, v28
	;; [unrolled: 1-line block ×3, first 2 shown]
	v_mul_f16_sdwa v14, v11, v14 dst_sel:DWORD dst_unused:UNUSED_PAD src0_sel:WORD_1 src1_sel:DWORD
	v_fma_f16 v0, -0.5, v37, v0
	v_fmac_f16_e32 v6, 0x3b9c, v26
	v_add_f16_e32 v37, v19, v21
	v_fmac_f16_e32 v10, 0xb8b4, v25
	v_add_f16_e32 v27, v27, v34
	v_fma_f16 v11, v11, v29, -v14
	v_fmamk_f16 v14, v25, 0x3b9c, v0
	v_sub_f16_e32 v29, v28, v35
	v_sub_f16_e32 v34, v30, v36
	v_fmac_f16_e32 v6, 0x38b4, v25
	v_add_f16_e32 v38, v22, v23
	v_fmac_f16_e32 v0, 0xbb9c, v25
	v_add_f16_e32 v25, v37, v22
	v_add_f16_e32 v9, v9, v30
	v_fmac_f16_e32 v10, 0x34f2, v27
	v_add_f16_e32 v29, v29, v34
	v_fma_f16 v34, -0.5, v38, v19
	v_sub_f16_e32 v35, v35, v36
	v_fmac_f16_e32 v6, 0x34f2, v27
	v_add_f16_e32 v25, v25, v23
	v_add_f16_e32 v27, v21, v2
	;; [unrolled: 1-line block ×3, first 2 shown]
	v_fmac_f16_e32 v14, 0xb8b4, v26
	v_fmac_f16_e32 v0, 0x38b4, v26
	v_fmamk_f16 v26, v35, 0x3b9c, v34
	v_sub_f16_e32 v28, v28, v30
	v_sub_f16_e32 v30, v21, v22
	;; [unrolled: 1-line block ×3, first 2 shown]
	v_fmac_f16_e32 v19, -0.5, v27
	v_add_f16_e32 v25, v25, v2
	v_fmac_f16_e32 v34, 0xbb9c, v35
	v_sub_f16_e32 v21, v22, v21
	v_sub_f16_e32 v2, v23, v2
	v_add_f16_e32 v22, v13, v8
	v_fmac_f16_e32 v14, 0x34f2, v29
	v_fmac_f16_e32 v0, 0x34f2, v29
	;; [unrolled: 1-line block ×3, first 2 shown]
	v_add_f16_e32 v27, v30, v36
	v_fmamk_f16 v29, v28, 0xbb9c, v19
	v_fmac_f16_e32 v34, 0xb8b4, v28
	v_add_f16_e32 v2, v21, v2
	v_fmac_f16_e32 v19, 0x3b9c, v28
	v_add_f16_e32 v21, v1, v4
	v_fma_f16 v22, -0.5, v22, v1
	v_sub_f16_e32 v23, v3, v11
	v_fmac_f16_e32 v26, 0x34f2, v27
	v_fmac_f16_e32 v29, 0x38b4, v35
	v_fmac_f16_e32 v34, 0x34f2, v27
	v_fmac_f16_e32 v19, 0xb8b4, v35
	v_add_f16_e32 v21, v21, v13
	v_fmamk_f16 v27, v23, 0xbb9c, v22
	v_sub_f16_e32 v28, v5, v7
	v_sub_f16_e32 v30, v4, v13
	;; [unrolled: 1-line block ×3, first 2 shown]
	v_fmac_f16_e32 v22, 0x3b9c, v23
	v_add_f16_e32 v36, v4, v24
	v_lshrrev_b32_e32 v20, 16, v1
	v_add_f16_e32 v21, v21, v8
	v_fmac_f16_e32 v27, 0xb8b4, v28
	v_add_f16_e32 v30, v30, v35
	v_fmac_f16_e32 v22, 0x38b4, v28
	v_fmac_f16_e32 v1, -0.5, v36
	v_sub_f16_e32 v35, v13, v4
	v_sub_f16_e32 v36, v8, v24
	v_fmac_f16_e32 v29, 0x34f2, v2
	v_fmac_f16_e32 v19, 0x34f2, v2
	v_add_f16_e32 v2, v21, v24
	v_fmac_f16_e32 v27, 0x34f2, v30
	v_fmac_f16_e32 v22, 0x34f2, v30
	v_fmamk_f16 v21, v28, 0x3b9c, v1
	v_add_f16_e32 v30, v5, v7
	v_fmac_f16_e32 v1, 0xbb9c, v28
	v_add_f16_e32 v28, v20, v3
	v_sub_f16_e32 v4, v4, v24
	v_add_f16_e32 v24, v35, v36
	v_add_f16_e32 v35, v3, v11
	v_fma_f16 v30, -0.5, v30, v20
	v_fmac_f16_e32 v21, 0xb8b4, v23
	v_fmac_f16_e32 v1, 0x38b4, v23
	v_add_f16_e32 v23, v28, v5
	v_sub_f16_e32 v8, v13, v8
	v_fmac_f16_e32 v20, -0.5, v35
	v_fmamk_f16 v28, v4, 0x3b9c, v30
	v_fmac_f16_e32 v21, 0x34f2, v24
	v_fmac_f16_e32 v1, 0x34f2, v24
	v_add_f16_e32 v13, v23, v7
	v_sub_f16_e32 v23, v3, v5
	v_sub_f16_e32 v24, v11, v7
	v_fmamk_f16 v35, v8, 0xbb9c, v20
	v_sub_f16_e32 v3, v5, v3
	v_sub_f16_e32 v5, v7, v11
	v_fmac_f16_e32 v30, 0xbb9c, v4
	v_fmac_f16_e32 v20, 0x3b9c, v8
	;; [unrolled: 1-line block ×3, first 2 shown]
	v_add_f16_e32 v7, v23, v24
	v_fmac_f16_e32 v35, 0x38b4, v4
	v_add_f16_e32 v3, v3, v5
	v_fmac_f16_e32 v30, 0xb8b4, v8
	v_fmac_f16_e32 v20, 0xb8b4, v4
	v_add_f16_e32 v4, v13, v11
	v_fmac_f16_e32 v28, 0x34f2, v7
	v_fmac_f16_e32 v35, 0x34f2, v3
	;; [unrolled: 1-line block ×4, first 2 shown]
	v_pack_b32_f16 v3, v9, v25
	v_pack_b32_f16 v5, v10, v26
	;; [unrolled: 1-line block ×10, first 2 shown]
	ds_write2_b32 v33, v3, v5 offset1:154
	ds_write2_b32 v15, v7, v0 offset0:52 offset1:206
	ds_write2_b32 v16, v6, v2 offset0:40 offset1:194
	;; [unrolled: 1-line block ×4, first 2 shown]
	s_waitcnt lgkmcnt(0)
	s_barrier
	buffer_gl0_inv
	ds_read2_b32 v[0:1], v33 offset1:154
	ds_read2_b32 v[2:3], v16 offset0:40 offset1:194
	ds_read2_b32 v[4:5], v17 offset0:28 offset1:182
	ds_read2_b32 v[6:7], v15 offset0:52 offset1:206
	ds_read2_b32 v[8:9], v18 offset0:80 offset1:234
	s_waitcnt lgkmcnt(4)
	v_lshrrev_b32_e32 v10, 16, v0
	s_waitcnt lgkmcnt(3)
	v_lshrrev_b32_e32 v11, 16, v3
	;; [unrolled: 2-line block ×3, first 2 shown]
	v_lshrrev_b32_e32 v20, 16, v5
	v_mul_f16_sdwa v28, v53, v4 dst_sel:DWORD dst_unused:UNUSED_PAD src0_sel:WORD_1 src1_sel:DWORD
	s_waitcnt lgkmcnt(0)
	v_lshrrev_b32_e32 v22, 16, v8
	v_mul_f16_sdwa v24, v54, v11 dst_sel:DWORD dst_unused:UNUSED_PAD src0_sel:WORD_1 src1_sel:DWORD
	v_mul_f16_sdwa v27, v53, v14 dst_sel:DWORD dst_unused:UNUSED_PAD src0_sel:WORD_1 src1_sel:DWORD
	v_mul_f16_sdwa v26, v54, v3 dst_sel:DWORD dst_unused:UNUSED_PAD src0_sel:WORD_1 src1_sel:DWORD
	v_lshrrev_b32_e32 v25, 16, v9
	v_lshrrev_b32_e32 v13, 16, v1
	v_fmac_f16_e32 v24, v54, v3
	v_mul_f16_sdwa v3, v49, v20 dst_sel:DWORD dst_unused:UNUSED_PAD src0_sel:WORD_1 src1_sel:DWORD
	v_fmac_f16_e32 v27, v53, v4
	v_fma_f16 v4, v53, v14, -v28
	v_mul_f16_sdwa v14, v49, v5 dst_sel:DWORD dst_unused:UNUSED_PAD src0_sel:WORD_1 src1_sel:DWORD
	v_fma_f16 v11, v54, v11, -v26
	v_fmac_f16_e32 v3, v49, v5
	v_mul_f16_sdwa v5, v50, v22 dst_sel:DWORD dst_unused:UNUSED_PAD src0_sel:WORD_1 src1_sel:DWORD
	v_mul_f16_sdwa v26, v50, v8 dst_sel:DWORD dst_unused:UNUSED_PAD src0_sel:WORD_1 src1_sel:DWORD
	;; [unrolled: 1-line block ×3, first 2 shown]
	v_fma_f16 v14, v49, v20, -v14
	v_mul_f16_sdwa v20, v51, v9 dst_sel:DWORD dst_unused:UNUSED_PAD src0_sel:WORD_1 src1_sel:DWORD
	v_lshrrev_b32_e32 v19, 16, v6
	v_lshrrev_b32_e32 v21, 16, v7
	v_fmac_f16_e32 v5, v50, v8
	v_fma_f16 v8, v50, v22, -v26
	v_lshrrev_b32_e32 v23, 16, v2
	v_fmac_f16_e32 v28, v51, v9
	v_fma_f16 v20, v51, v25, -v20
	v_sub_f16_e32 v9, v0, v24
	v_sub_f16_e32 v11, v10, v11
	v_sub_f16_e32 v22, v1, v27
	v_sub_f16_e32 v4, v13, v4
	v_sub_f16_e32 v3, v6, v3
	v_sub_f16_e32 v14, v19, v14
	v_sub_f16_e32 v5, v7, v5
	v_sub_f16_e32 v8, v21, v8
	v_sub_f16_e32 v24, v2, v28
	v_sub_f16_e32 v20, v23, v20
	v_fma_f16 v0, v0, 2.0, -v9
	v_fma_f16 v10, v10, 2.0, -v11
	;; [unrolled: 1-line block ×10, first 2 shown]
	v_pack_b32_f16 v0, v0, v10
	v_pack_b32_f16 v1, v1, v13
	v_pack_b32_f16 v4, v22, v4
	v_pack_b32_f16 v3, v3, v14
	v_pack_b32_f16 v6, v6, v19
	v_pack_b32_f16 v7, v7, v21
	v_pack_b32_f16 v9, v9, v11
	v_pack_b32_f16 v2, v2, v23
	v_pack_b32_f16 v5, v5, v8
	v_pack_b32_f16 v8, v24, v20
	ds_write2_b32 v33, v0, v1 offset1:154
	ds_write2_b32 v17, v4, v3 offset0:28 offset1:182
	ds_write2_b32 v15, v6, v7 offset0:52 offset1:206
	;; [unrolled: 1-line block ×4, first 2 shown]
	s_waitcnt lgkmcnt(0)
	s_barrier
	buffer_gl0_inv
	s_and_b32 exec_lo, exec_lo, vcc_lo
	s_cbranch_execz .LBB0_23
; %bb.22:
	s_clause 0x3
	global_load_dword v2, v31, s[14:15]
	global_load_dword v3, v31, s[14:15] offset:560
	global_load_dword v7, v31, s[14:15] offset:1120
	;; [unrolled: 1-line block ×3, first 2 shown]
	v_add_co_u32 v10, s0, s14, v31
	v_add_co_ci_u32_e64 v24, null, s15, 0, s0
	v_mad_u64_u32 v[14:15], null, s6, v12, 0
	v_add_co_u32 v4, vcc_lo, 0x800, v10
	v_add_co_ci_u32_e32 v5, vcc_lo, 0, v24, vcc_lo
	v_mad_u64_u32 v[16:17], null, s4, v32, 0
	s_clause 0x1
	global_load_dword v11, v[4:5], off offset:192
	global_load_dword v13, v[4:5], off offset:752
	v_add_nc_u32_e32 v0, 0x200, v31
	v_add_nc_u32_e32 v1, 0x600, v31
	v_mov_b32_e32 v6, v15
	v_add_nc_u32_e32 v8, 0xa00, v31
	ds_read_b32 v27, v33
	ds_read2_b32 v[18:19], v0 offset0:12 offset1:152
	ds_read2_b32 v[20:21], v1 offset0:36 offset1:176
	;; [unrolled: 1-line block ×3, first 2 shown]
	v_mov_b32_e32 v8, v17
	s_mov_b32 s16, 0xe6bb82fe
	s_mov_b32 s17, 0x3f454725
	s_mul_i32 s0, s5, 0x230
	s_mul_hi_u32 s19, s4, 0x230
	s_mul_i32 s18, s4, 0x230
	s_add_i32 s19, s19, s0
	s_waitcnt lgkmcnt(0)
	v_lshrrev_b32_e32 v30, 16, v0
	s_waitcnt vmcnt(4)
	v_mul_f16_sdwa v28, v18, v3 dst_sel:DWORD dst_unused:UNUSED_PAD src0_sel:DWORD src1_sel:WORD_1
	s_waitcnt vmcnt(3)
	v_mad_u64_u32 v[22:23], null, s7, v12, v[6:7]
	s_waitcnt vmcnt(2)
	v_mad_u64_u32 v[25:26], null, s5, v32, v[8:9]
	v_add_co_u32 v23, vcc_lo, 0x1000, v10
	v_add_co_ci_u32_e32 v24, vcc_lo, 0, v24, vcc_lo
	v_mov_b32_e32 v15, v22
	v_lshrrev_b32_e32 v12, 16, v27
	v_mov_b32_e32 v17, v25
	v_lshrrev_b32_e32 v22, 16, v18
	s_clause 0x3
	global_load_dword v10, v[4:5], off offset:1312
	global_load_dword v8, v[4:5], off offset:1872
	;; [unrolled: 1-line block ×4, first 2 shown]
	v_lshlrev_b64 v[14:15], 2, v[14:15]
	global_load_dword v6, v[23:24], off offset:1504
	v_lshlrev_b64 v[16:17], 2, v[16:17]
	v_lshrrev_b32_e32 v24, 16, v20
	v_mul_f16_sdwa v26, v22, v3 dst_sel:DWORD dst_unused:UNUSED_PAD src0_sel:DWORD src1_sel:WORD_1
	v_lshrrev_b32_e32 v23, 16, v19
	v_add_co_u32 v14, vcc_lo, s12, v14
	v_add_co_ci_u32_e32 v15, vcc_lo, s13, v15, vcc_lo
	v_mul_f16_sdwa v33, v24, v9 dst_sel:DWORD dst_unused:UNUSED_PAD src0_sel:DWORD src1_sel:WORD_1
	v_add_co_u32 v14, vcc_lo, v14, v16
	v_mul_f16_sdwa v16, v12, v2 dst_sel:DWORD dst_unused:UNUSED_PAD src0_sel:DWORD src1_sel:WORD_1
	v_add_co_ci_u32_e32 v15, vcc_lo, v15, v17, vcc_lo
	v_mul_f16_sdwa v17, v27, v2 dst_sel:DWORD dst_unused:UNUSED_PAD src0_sel:DWORD src1_sel:WORD_1
	v_fmac_f16_e32 v26, v18, v3
	v_fmac_f16_e32 v16, v27, v2
	v_fma_f16 v3, v3, v22, -v28
	v_mul_f16_sdwa v34, v20, v9 dst_sel:DWORD dst_unused:UNUSED_PAD src0_sel:DWORD src1_sel:WORD_1
	v_fma_f16 v2, v2, v12, -v17
	v_fmac_f16_e32 v33, v20, v9
	v_cvt_f32_f16_e32 v12, v16
	v_cvt_f32_f16_e32 v20, v3
	v_mul_f16_sdwa v29, v23, v7 dst_sel:DWORD dst_unused:UNUSED_PAD src0_sel:DWORD src1_sel:WORD_1
	v_cvt_f32_f16_e32 v16, v2
	v_cvt_f32_f16_e32 v18, v26
	v_cvt_f64_f32_e32 v[2:3], v12
	v_lshrrev_b32_e32 v25, 16, v21
	v_mul_f16_sdwa v32, v19, v7 dst_sel:DWORD dst_unused:UNUSED_PAD src0_sel:DWORD src1_sel:WORD_1
	v_cvt_f64_f32_e32 v[16:17], v16
	v_fmac_f16_e32 v29, v19, v7
	v_cvt_f64_f32_e32 v[18:19], v18
	v_fma_f16 v9, v9, v24, -v34
	v_fma_f16 v7, v7, v23, -v32
	s_waitcnt vmcnt(6)
	v_mul_f16_sdwa v27, v25, v11 dst_sel:DWORD dst_unused:UNUSED_PAD src0_sel:DWORD src1_sel:WORD_1
	v_cvt_f32_f16_e32 v24, v29
	v_mul_f16_sdwa v12, v21, v11 dst_sel:DWORD dst_unused:UNUSED_PAD src0_sel:DWORD src1_sel:WORD_1
	v_cvt_f64_f32_e32 v[22:23], v20
	v_cvt_f32_f16_e32 v7, v7
	v_fmac_f16_e32 v27, v21, v11
	s_waitcnt vmcnt(5)
	v_mul_f16_sdwa v28, v30, v13 dst_sel:DWORD dst_unused:UNUSED_PAD src0_sel:DWORD src1_sel:WORD_1
	v_fma_f16 v25, v11, v25, -v12
	v_cvt_f64_f32_e32 v[11:12], v24
	v_cvt_f32_f16_e32 v26, v33
	v_cvt_f64_f32_e32 v[20:21], v7
	v_mul_f16_sdwa v36, v0, v13 dst_sel:DWORD dst_unused:UNUSED_PAD src0_sel:DWORD src1_sel:WORD_1
	v_fmac_f16_e32 v28, v0, v13
	v_cvt_f32_f16_e32 v0, v27
	v_mul_f64 v[2:3], v[2:3], s[16:17]
	v_cvt_f32_f16_e32 v9, v9
	v_cvt_f32_f16_e32 v7, v25
	v_mul_f64 v[16:17], v[16:17], s[16:17]
	v_cvt_f64_f32_e32 v[24:25], v26
	v_mul_f64 v[18:19], v[18:19], s[16:17]
	v_cvt_f32_f16_e32 v34, v28
	v_cvt_f64_f32_e32 v[28:29], v0
	v_fma_f16 v0, v13, v30, -v36
	v_cvt_f64_f32_e32 v[26:27], v9
	v_add_co_u32 v36, vcc_lo, v14, s18
	v_mul_f64 v[22:23], v[22:23], s[16:17]
	v_cvt_f32_f16_e32 v0, v0
	v_add_co_ci_u32_e32 v37, vcc_lo, s19, v15, vcc_lo
	v_mul_f64 v[11:12], v[11:12], s[16:17]
	v_add_co_u32 v38, vcc_lo, v36, s18
	v_cvt_f64_f32_e32 v[40:41], v0
	v_mul_f64 v[20:21], v[20:21], s[16:17]
	v_add_co_ci_u32_e32 v39, vcc_lo, s19, v37, vcc_lo
	v_and_or_b32 v0, 0x1ff, v3, v2
	v_lshrrev_b32_e32 v2, 8, v3
	v_and_or_b32 v9, 0x1ff, v17, v16
	v_mul_f64 v[24:25], v[24:25], s[16:17]
	v_and_or_b32 v18, 0x1ff, v19, v18
	v_cmp_ne_u32_e32 vcc_lo, 0, v0
	v_cvt_f64_f32_e32 v[32:33], v7
	v_bfe_u32 v7, v3, 20, 11
	v_mul_f64 v[26:27], v[26:27], s[16:17]
	v_lshrrev_b32_e32 v13, 8, v17
	v_cndmask_b32_e64 v0, 0, 1, vcc_lo
	v_cmp_ne_u32_e32 vcc_lo, 0, v9
	v_and_or_b32 v22, 0x1ff, v23, v22
	v_bfe_u32 v16, v17, 20, 11
	v_lshrrev_b32_e32 v30, 8, v19
	v_and_or_b32 v11, 0x1ff, v12, v11
	v_cndmask_b32_e64 v9, 0, 1, vcc_lo
	v_cmp_ne_u32_e32 vcc_lo, 0, v18
	v_bfe_u32 v46, v12, 20, 11
	v_and_or_b32 v20, 0x1ff, v21, v20
	v_bfe_u32 v48, v21, 20, 11
	v_and_or_b32 v0, 0xffe, v2, v0
	v_cndmask_b32_e64 v18, 0, 1, vcc_lo
	v_cmp_ne_u32_e32 vcc_lo, 0, v22
	v_lshrrev_b32_e32 v45, 8, v12
	v_and_or_b32 v24, 0x1ff, v25, v24
	v_lshrrev_b32_e32 v47, 8, v21
	v_bfe_u32 v50, v25, 20, 11
	v_cndmask_b32_e64 v22, 0, 1, vcc_lo
	v_cmp_ne_u32_e32 vcc_lo, 0, v11
	v_and_or_b32 v26, 0x1ff, v27, v26
	v_bfe_u32 v52, v27, 20, 11
	v_sub_nc_u32_e32 v53, 0x3f1, v7
	v_add_nc_u32_e32 v7, 0xfffffc10, v7
	v_cndmask_b32_e64 v11, 0, 1, vcc_lo
	v_cmp_ne_u32_e32 vcc_lo, 0, v20
	v_sub_nc_u32_e32 v57, 0x3f1, v46
	v_sub_nc_u32_e32 v58, 0x3f1, v48
	v_and_or_b32 v9, 0xffe, v13, v9
	v_bfe_u32 v42, v19, 20, 11
	v_cndmask_b32_e64 v20, 0, 1, vcc_lo
	v_cmp_ne_u32_e32 vcc_lo, 0, v24
	v_lshrrev_b32_e32 v43, 8, v23
	v_lshrrev_b32_e32 v49, 8, v25
	;; [unrolled: 1-line block ×3, first 2 shown]
	v_sub_nc_u32_e32 v54, 0x3f1, v16
	v_cndmask_b32_e64 v24, 0, 1, vcc_lo
	v_cmp_ne_u32_e32 vcc_lo, 0, v26
	v_add_nc_u32_e32 v16, 0xfffffc10, v16
	v_sub_nc_u32_e32 v59, 0x3f1, v50
	v_sub_nc_u32_e32 v60, 0x3f1, v52
	v_and_or_b32 v18, 0xffe, v30, v18
	v_cndmask_b32_e64 v26, 0, 1, vcc_lo
	v_cmp_ne_u32_e32 vcc_lo, 0, v0
	v_and_or_b32 v11, 0xffe, v45, v11
	v_med3_i32 v45, v57, 0, 13
	v_and_or_b32 v20, 0xffe, v47, v20
	v_med3_i32 v47, v58, 0, 13
	v_or_b32_e32 v57, 0x1000, v0
	v_lshl_or_b32 v58, v7, 12, v0
	v_cndmask_b32_e64 v0, 0, 1, vcc_lo
	v_cmp_ne_u32_e32 vcc_lo, 0, v9
	v_bfe_u32 v44, v23, 20, 11
	v_sub_nc_u32_e32 v55, 0x3f1, v42
	v_add_nc_u32_e32 v42, 0xfffffc10, v42
	v_and_or_b32 v22, 0xffe, v43, v22
	v_and_or_b32 v24, 0xffe, v49, v24
	v_med3_i32 v49, v59, 0, 13
	v_and_or_b32 v26, 0xffe, v51, v26
	v_med3_i32 v51, v60, 0, 13
	v_or_b32_e32 v59, 0x1000, v9
	v_lshl_or_b32 v60, v16, 12, v9
	v_cndmask_b32_e64 v9, 0, 1, vcc_lo
	v_cmp_ne_u32_e32 vcc_lo, 0, v18
	v_mul_f64 v[28:29], v[28:29], s[16:17]
	v_sub_nc_u32_e32 v56, 0x3f1, v44
	v_add_nc_u32_e32 v44, 0xfffffc10, v44
	v_or_b32_e32 v61, 0x1000, v18
	v_lshl_or_b32 v62, v42, 12, v18
	v_cndmask_b32_e64 v18, 0, 1, vcc_lo
	v_cmp_ne_u32_e32 vcc_lo, 0, v22
	v_add_nc_u32_e32 v46, 0xfffffc10, v46
	v_or_b32_e32 v63, 0x1000, v22
	v_lshl_or_b32 v64, v44, 12, v22
	v_mul_f64 v[32:33], v[32:33], s[16:17]
	v_cndmask_b32_e64 v22, 0, 1, vcc_lo
	v_cmp_ne_u32_e32 vcc_lo, 0, v11
	v_add_nc_u32_e32 v48, 0xfffffc10, v48
	v_or_b32_e32 v65, 0x1000, v11
	v_lshl_or_b32 v66, v46, 12, v11
	v_add_nc_u32_e32 v50, 0xfffffc10, v50
	v_cndmask_b32_e64 v11, 0, 1, vcc_lo
	v_cmp_ne_u32_e32 vcc_lo, 0, v20
	v_or_b32_e32 v67, 0x1000, v20
	v_lshl_or_b32 v68, v48, 12, v20
	v_add_nc_u32_e32 v52, 0xfffffc10, v52
	v_and_or_b32 v28, 0x1ff, v29, v28
	v_cndmask_b32_e64 v20, 0, 1, vcc_lo
	v_cmp_ne_u32_e32 vcc_lo, 0, v24
	v_or_b32_e32 v69, 0x1000, v24
	v_lshl_or_b32 v70, v50, 12, v24
	v_or_b32_e32 v71, 0x1000, v26
	v_lshl_or_b32 v72, v52, 12, v26
	v_cndmask_b32_e64 v24, 0, 1, vcc_lo
	v_cmp_ne_u32_e32 vcc_lo, 0, v26
	v_med3_i32 v2, v53, 0, 13
	v_lshrrev_b32_e32 v53, 8, v29
	v_and_or_b32 v32, 0x1ff, v33, v32
	v_med3_i32 v13, v54, 0, 13
	v_cndmask_b32_e64 v26, 0, 1, vcc_lo
	v_cmp_ne_u32_e32 vcc_lo, 0, v28
	v_med3_i32 v43, v56, 0, 13
	v_bfe_u32 v54, v29, 20, 11
	v_bfe_u32 v56, v33, 20, 11
	v_lshrrev_b32_e32 v75, v2, v57
	v_cndmask_b32_e64 v28, 0, 1, vcc_lo
	v_cmp_ne_u32_e32 vcc_lo, 0, v32
	v_med3_i32 v30, v55, 0, 13
	v_lshrrev_b32_e32 v55, 8, v33
	v_sub_nc_u32_e32 v73, 0x3f1, v54
	v_and_or_b32 v28, 0xffe, v53, v28
	v_add_nc_u32_e32 v54, 0xfffffc10, v54
	v_cndmask_b32_e64 v32, 0, 1, vcc_lo
	v_sub_nc_u32_e32 v74, 0x3f1, v56
	v_lshrrev_b32_e32 v76, v13, v59
	v_lshlrev_b32_e32 v2, v2, v75
	v_cmp_ne_u32_e32 vcc_lo, 0, v28
	v_lshrrev_b32_e32 v77, v30, v61
	v_med3_i32 v53, v73, 0, 13
	v_and_or_b32 v32, 0xffe, v55, v32
	v_med3_i32 v55, v74, 0, 13
	v_lshlrev_b32_e32 v13, v13, v76
	v_or_b32_e32 v73, 0x1000, v28
	v_lshl_or_b32 v74, v54, 12, v28
	v_cndmask_b32_e64 v28, 0, 1, vcc_lo
	v_cmp_ne_u32_e32 vcc_lo, v2, v57
	v_lshrrev_b32_e32 v78, v43, v63
	v_lshlrev_b32_e32 v30, v30, v77
	v_lshrrev_b32_e32 v79, v45, v65
	v_lshrrev_b32_e32 v80, v47, v67
	v_cndmask_b32_e64 v2, 0, 1, vcc_lo
	v_cmp_ne_u32_e32 vcc_lo, v13, v59
	v_lshlrev_b32_e32 v43, v43, v78
	v_lshlrev_b32_e32 v45, v45, v79
	v_lshrrev_b32_e32 v81, v49, v69
	v_lshlrev_b32_e32 v47, v47, v80
	v_cndmask_b32_e64 v13, 0, 1, vcc_lo
	v_cmp_ne_u32_e32 vcc_lo, v30, v61
	v_lshrrev_b32_e32 v82, v51, v71
	v_lshlrev_b32_e32 v49, v49, v81
	v_or_b32_e32 v2, v75, v2
	v_or_b32_e32 v13, v76, v13
	v_cndmask_b32_e64 v30, 0, 1, vcc_lo
	v_cmp_ne_u32_e32 vcc_lo, v43, v63
	v_lshlrev_b32_e32 v51, v51, v82
	v_or_b32_e32 v83, 0x1000, v32
	v_lshrrev_b32_e32 v57, v53, v73
	v_or_b32_e32 v30, v77, v30
	v_cndmask_b32_e64 v43, 0, 1, vcc_lo
	v_cmp_ne_u32_e32 vcc_lo, v45, v65
	v_lshrrev_b32_e32 v59, v55, v83
	v_lshlrev_b32_e32 v53, v53, v57
	v_cvt_f64_f32_e32 v[34:35], v34
	v_or_b32_e32 v43, v78, v43
	v_cndmask_b32_e64 v45, 0, 1, vcc_lo
	v_cmp_ne_u32_e32 vcc_lo, v47, v67
	v_lshlrev_b32_e32 v55, v55, v59
	v_lshl_or_b32 v0, v0, 9, 0x7c00
	v_lshl_or_b32 v9, v9, 9, 0x7c00
	v_or_b32_e32 v45, v79, v45
	v_cndmask_b32_e64 v47, 0, 1, vcc_lo
	v_cmp_ne_u32_e32 vcc_lo, v49, v69
	v_lshl_or_b32 v18, v18, 9, 0x7c00
	v_cmp_gt_i32_e64 s15, 1, v54
	v_lshl_or_b32 v22, v22, 9, 0x7c00
	v_or_b32_e32 v47, v80, v47
	v_cndmask_b32_e64 v49, 0, 1, vcc_lo
	v_cmp_ne_u32_e32 vcc_lo, v51, v71
	v_lshl_or_b32 v11, v11, 9, 0x7c00
	v_lshrrev_b32_e32 v3, 16, v3
	v_lshrrev_b32_e32 v19, 16, v19
	v_or_b32_e32 v49, v81, v49
	v_cndmask_b32_e64 v51, 0, 1, vcc_lo
	v_cmp_gt_i32_e32 vcc_lo, 1, v7
	v_mul_f64 v[34:35], v[34:35], s[16:17]
	v_lshrrev_b32_e32 v12, 16, v12
	v_lshl_or_b32 v20, v20, 9, 0x7c00
	v_or_b32_e32 v51, v82, v51
	v_cndmask_b32_e32 v2, v58, v2, vcc_lo
	v_cmp_gt_i32_e32 vcc_lo, 1, v16
	v_lshrrev_b32_e32 v17, 16, v17
	v_lshrrev_b32_e32 v23, 16, v23
	;; [unrolled: 1-line block ×3, first 2 shown]
	v_and_b32_e32 v58, 7, v2
	v_cndmask_b32_e32 v13, v60, v13, vcc_lo
	v_cmp_gt_i32_e32 vcc_lo, 1, v42
	v_lshrrev_b32_e32 v2, 2, v2
	v_add_nc_u32_e32 v56, 0xfffffc10, v56
	v_cmp_eq_u32_e64 s0, 3, v58
	v_and_b32_e32 v60, 7, v13
	v_cndmask_b32_e32 v30, v62, v30, vcc_lo
	v_cmp_gt_i32_e32 vcc_lo, 1, v44
	v_lshrrev_b32_e32 v13, 2, v13
	v_lshl_or_b32 v84, v56, 12, v32
	v_cmp_lt_i32_e64 s1, 5, v60
	v_and_b32_e32 v61, 7, v30
	v_cndmask_b32_e32 v43, v64, v43, vcc_lo
	v_cmp_gt_i32_e32 vcc_lo, 1, v46
	v_cmp_eq_u32_e64 s2, 3, v60
	v_lshrrev_b32_e32 v30, 2, v30
	v_cmp_lt_i32_e64 s3, 5, v61
	v_and_b32_e32 v62, 7, v43
	v_cndmask_b32_e32 v45, v66, v45, vcc_lo
	v_cmp_gt_i32_e32 vcc_lo, 1, v48
	v_cmp_eq_u32_e64 s4, 3, v61
	v_lshrrev_b32_e32 v43, 2, v43
	;; [unrolled: 6-line block ×4, first 2 shown]
	v_cmp_lt_i32_e64 s9, 5, v64
	v_and_b32_e32 v65, 7, v49
	v_cndmask_b32_e32 v51, v72, v51, vcc_lo
	v_cmp_ne_u32_e32 vcc_lo, v53, v73
	v_cmp_eq_u32_e64 s10, 3, v64
	v_lshrrev_b32_e32 v49, 2, v49
	v_cmp_lt_i32_e64 s11, 5, v65
	v_and_b32_e32 v66, 7, v51
	v_cndmask_b32_e64 v53, 0, 1, vcc_lo
	v_cmp_ne_u32_e32 vcc_lo, v55, v83
	v_cmp_eq_u32_e64 s12, 3, v65
	v_lshrrev_b32_e32 v51, 2, v51
	v_cmp_lt_i32_e64 s13, 5, v66
	v_cmp_eq_u32_e64 s14, 3, v66
	v_cndmask_b32_e64 v55, 0, 1, vcc_lo
	v_cmp_lt_i32_e32 vcc_lo, 5, v58
	v_or_b32_e32 v53, v57, v53
	v_and_or_b32 v34, 0x1ff, v35, v34
	v_lshl_or_b32 v28, v28, 9, 0x7c00
	v_or_b32_e32 v55, v59, v55
	s_or_b32 vcc_lo, s0, vcc_lo
	v_cndmask_b32_e64 v53, v74, v53, s15
	v_add_co_ci_u32_e32 v2, vcc_lo, 0, v2, vcc_lo
	s_or_b32 vcc_lo, s2, s1
	v_cmp_eq_u32_e64 s1, 0x40f, v7
	v_add_co_ci_u32_e32 v13, vcc_lo, 0, v13, vcc_lo
	s_or_b32 vcc_lo, s4, s3
	v_and_b32_e32 v57, 7, v53
	v_add_co_ci_u32_e32 v30, vcc_lo, 0, v30, vcc_lo
	s_or_b32 vcc_lo, s6, s5
	v_lshrrev_b32_e32 v53, 2, v53
	v_add_co_ci_u32_e32 v43, vcc_lo, 0, v43, vcc_lo
	s_or_b32 vcc_lo, s8, s7
	v_cmp_eq_u32_e64 s0, 3, v57
	v_add_co_ci_u32_e32 v45, vcc_lo, 0, v45, vcc_lo
	s_or_b32 vcc_lo, s10, s9
	v_cmp_gt_i32_e64 s15, 1, v56
	v_add_co_ci_u32_e32 v47, vcc_lo, 0, v47, vcc_lo
	s_or_b32 vcc_lo, s12, s11
	v_lshl_or_b32 v24, v24, 9, 0x7c00
	v_add_co_ci_u32_e32 v49, vcc_lo, 0, v49, vcc_lo
	s_or_b32 vcc_lo, s14, s13
	v_cndmask_b32_e64 v55, v84, v55, s15
	v_add_co_ci_u32_e32 v51, vcc_lo, 0, v51, vcc_lo
	v_cmp_gt_i32_e32 vcc_lo, 31, v7
	v_lshrrev_b32_e32 v25, 16, v25
	v_lshl_or_b32 v26, v26, 9, 0x7c00
	v_lshrrev_b32_e32 v27, 16, v27
	v_cndmask_b32_e32 v2, 0x7c00, v2, vcc_lo
	v_cmp_gt_i32_e32 vcc_lo, 31, v16
	v_cndmask_b32_e64 v0, v2, v0, s1
	v_cndmask_b32_e32 v13, 0x7c00, v13, vcc_lo
	v_cmp_gt_i32_e32 vcc_lo, 31, v42
	v_cmp_eq_u32_e64 s1, 0x40f, v16
	v_and_or_b32 v0, 0x8000, v3, v0
	v_cndmask_b32_e32 v30, 0x7c00, v30, vcc_lo
	v_cmp_gt_i32_e32 vcc_lo, 31, v44
	v_cndmask_b32_e64 v2, v13, v9, s1
	v_cmp_eq_u32_e64 s1, 0x40f, v42
	v_and_b32_e32 v0, 0xffff, v0
	v_cndmask_b32_e32 v43, 0x7c00, v43, vcc_lo
	v_cmp_gt_i32_e32 vcc_lo, 31, v46
	v_cndmask_b32_e64 v7, v30, v18, s1
	v_cmp_eq_u32_e64 s1, 0x40f, v44
	v_and_or_b32 v2, 0x8000, v17, v2
	v_lshrrev_b32_e32 v17, 16, v29
	v_cndmask_b32_e32 v45, 0x7c00, v45, vcc_lo
	v_cmp_gt_i32_e32 vcc_lo, 31, v48
	v_cndmask_b32_e64 v9, v43, v22, s1
	v_cmp_eq_u32_e64 s1, 0x40f, v46
	v_and_or_b32 v3, 0x8000, v19, v7
	v_lshl_or_b32 v0, v2, 16, v0
	v_cndmask_b32_e32 v47, 0x7c00, v47, vcc_lo
	v_cmp_gt_i32_e32 vcc_lo, 31, v50
	v_cndmask_b32_e64 v11, v45, v11, s1
	v_cmp_eq_u32_e64 s1, 0x40f, v48
	v_and_or_b32 v9, 0x8000, v23, v9
	v_and_b32_e32 v3, 0xffff, v3
	v_cndmask_b32_e32 v49, 0x7c00, v49, vcc_lo
	v_cmp_gt_i32_e32 vcc_lo, 31, v52
	v_cndmask_b32_e64 v13, v47, v20, s1
	v_and_or_b32 v7, 0x8000, v12, v11
	v_lshl_or_b32 v2, v9, 16, v3
	v_cmp_eq_u32_e64 s1, 0x40f, v50
	v_cndmask_b32_e32 v51, 0x7c00, v51, vcc_lo
	v_cmp_lt_i32_e32 vcc_lo, 5, v57
	v_and_or_b32 v11, 0x8000, v21, v13
	v_and_b32_e32 v7, 0xffff, v7
	v_cndmask_b32_e64 v16, v49, v24, s1
	v_cmp_eq_u32_e64 s1, 0x40f, v52
	s_or_b32 vcc_lo, s0, vcc_lo
	v_add_co_ci_u32_e32 v20, vcc_lo, 0, v53, vcc_lo
	v_cmp_gt_i32_e32 vcc_lo, 31, v54
	v_lshl_or_b32 v3, v11, 16, v7
	global_store_dword v[14:15], v0, off
	global_store_dword v[36:37], v2, off
	;; [unrolled: 1-line block ×3, first 2 shown]
	v_cndmask_b32_e32 v7, 0x7c00, v20, vcc_lo
	v_cmp_eq_u32_e32 vcc_lo, 0x40f, v54
	v_and_b32_e32 v2, 7, v55
	v_and_or_b32 v12, 0x8000, v25, v16
	v_bfe_u32 v11, v35, 20, 11
	v_cndmask_b32_e64 v18, v51, v26, s1
	v_cndmask_b32_e32 v0, v7, v28, vcc_lo
	v_cmp_ne_u32_e32 vcc_lo, 0, v34
	v_lshrrev_b32_e32 v7, 8, v35
	v_cmp_eq_u32_e64 s0, 3, v2
	v_and_b32_e32 v9, 0xffff, v12
	v_lshrrev_b32_e32 v12, 2, v55
	v_cndmask_b32_e64 v3, 0, 1, vcc_lo
	v_cmp_lt_i32_e32 vcc_lo, 5, v2
	v_sub_nc_u32_e32 v14, 0x3f1, v11
	v_and_or_b32 v13, 0x8000, v27, v18
	v_lshrrev_b32_e32 v18, 16, v1
	v_and_or_b32 v7, 0xffe, v7, v3
	v_mul_f64 v[2:3], v[40:41], s[16:17]
	s_or_b32 vcc_lo, s0, vcc_lo
	v_med3_i32 v14, v14, 0, 13
	v_add_co_ci_u32_e32 v12, vcc_lo, 0, v12, vcc_lo
	v_cmp_ne_u32_e32 vcc_lo, 0, v32
	v_or_b32_e32 v16, 0x1000, v7
	s_waitcnt vmcnt(4)
	v_mul_f16_sdwa v20, v18, v10 dst_sel:DWORD dst_unused:UNUSED_PAD src0_sel:DWORD src1_sel:WORD_1
	v_lshl_or_b32 v21, v13, 16, v9
	v_and_or_b32 v0, 0x8000, v17, v0
	v_cndmask_b32_e64 v15, 0, 1, vcc_lo
	v_cmp_gt_i32_e32 vcc_lo, 31, v56
	v_lshrrev_b32_e32 v19, v14, v16
	v_fmac_f16_e32 v20, v1, v10
	v_add_nc_u32_e32 v17, 0xfffffc10, v11
	v_lshl_or_b32 v15, v15, 9, 0x7c00
	v_cndmask_b32_e32 v12, 0x7c00, v12, vcc_lo
	v_cmp_eq_u32_e32 vcc_lo, 0x40f, v56
	v_lshlrev_b32_e32 v9, v14, v19
	v_cvt_f32_f16_e32 v11, v20
	v_lshl_or_b32 v14, v17, 12, v7
	v_and_b32_e32 v0, 0xffff, v0
	v_cndmask_b32_e32 v12, v12, v15, vcc_lo
	v_and_or_b32 v2, 0x1ff, v3, v2
	v_cmp_ne_u32_e32 vcc_lo, v9, v16
	v_lshrrev_b32_e32 v15, 16, v33
	v_lshrrev_b32_e32 v13, 8, v3
	v_bfe_u32 v20, v3, 20, 11
	v_mul_f16_sdwa v26, v1, v10 dst_sel:DWORD dst_unused:UNUSED_PAD src0_sel:DWORD src1_sel:WORD_1
	v_cndmask_b32_e64 v9, 0, 1, vcc_lo
	v_cmp_ne_u32_e32 vcc_lo, 0, v2
	v_and_or_b32 v15, 0x8000, v15, v12
	v_cvt_f64_f32_e32 v[11:12], v11
	v_fma_f16 v10, v10, v18, -v26
	v_or_b32_e32 v9, v19, v9
	v_cndmask_b32_e64 v2, 0, 1, vcc_lo
	v_cmp_gt_i32_e32 vcc_lo, 1, v17
	v_lshl_or_b32 v23, v15, 16, v0
	v_cvt_f32_f16_e32 v10, v10
	v_add_nc_u32_e32 v18, 0xfffffc10, v20
	v_and_or_b32 v2, 0xffe, v13, v2
	v_sub_nc_u32_e32 v13, 0x3f1, v20
	v_cndmask_b32_e32 v9, v14, v9, vcc_lo
	v_or_b32_e32 v19, 0x1000, v2
	v_med3_i32 v22, v13, 0, 13
	v_add_co_u32 v13, vcc_lo, v38, s18
	v_add_co_ci_u32_e32 v14, vcc_lo, s19, v39, vcc_lo
	v_lshrrev_b32_e32 v25, v22, v19
	v_and_b32_e32 v24, 7, v9
	v_add_co_u32 v15, vcc_lo, v13, s18
	v_mul_f64 v[0:1], v[11:12], s[16:17]
	v_lshlrev_b32_e32 v11, v22, v25
	v_add_co_ci_u32_e32 v16, vcc_lo, s19, v14, vcc_lo
	v_cmp_lt_i32_e32 vcc_lo, 5, v24
	v_cmp_eq_u32_e64 s0, 3, v24
	v_lshrrev_b32_e32 v9, 2, v9
	v_cmp_ne_u32_e64 s1, v11, v19
	v_lshl_or_b32 v22, v18, 12, v2
	v_add_nc_u32_e32 v12, 0xe00, v31
	s_or_b32 vcc_lo, s0, vcc_lo
	v_add_co_ci_u32_e32 v19, vcc_lo, 0, v9, vcc_lo
	v_cndmask_b32_e64 v11, 0, 1, s1
	v_cmp_ne_u32_e32 vcc_lo, 0, v7
	v_cvt_f64_f32_e32 v[9:10], v10
	v_or_b32_e32 v20, v25, v11
	v_cndmask_b32_e64 v7, 0, 1, vcc_lo
	v_cmp_gt_i32_e32 vcc_lo, 1, v18
	v_and_or_b32 v0, 0x1ff, v1, v0
	ds_read2_b32 v[11:12], v12 offset0:84 offset1:224
	v_lshrrev_b32_e32 v24, 8, v1
	v_lshl_or_b32 v7, v7, 9, 0x7c00
	v_cndmask_b32_e32 v20, v22, v20, vcc_lo
	v_cmp_gt_i32_e32 vcc_lo, 31, v17
	v_bfe_u32 v25, v1, 20, 11
	global_store_dword v[13:14], v21, off
	global_store_dword v[15:16], v23, off
	v_lshrrev_b32_e32 v23, 16, v1
	v_and_b32_e32 v22, 7, v20
	v_cndmask_b32_e32 v19, 0x7c00, v19, vcc_lo
	v_cmp_ne_u32_e32 vcc_lo, 0, v0
	v_lshrrev_b32_e32 v20, 2, v20
	v_cmp_eq_u32_e64 s0, 3, v22
	v_cndmask_b32_e64 v0, 0, 1, vcc_lo
	v_cmp_eq_u32_e32 vcc_lo, 0x40f, v17
	v_mul_f64 v[9:10], v[9:10], s[16:17]
	v_lshrrev_b32_e32 v17, 16, v35
	v_and_or_b32 v0, 0xffe, v24, v0
	v_cndmask_b32_e32 v7, v19, v7, vcc_lo
	v_cmp_lt_i32_e32 vcc_lo, 5, v22
	v_sub_nc_u32_e32 v19, 0x3f1, v25
	s_waitcnt lgkmcnt(0)
	v_lshrrev_b32_e32 v24, 16, v11
	v_or_b32_e32 v22, 0x1000, v0
	v_and_or_b32 v7, 0x8000, v17, v7
	s_or_b32 vcc_lo, s0, vcc_lo
	v_med3_i32 v19, v19, 0, 13
	v_add_co_ci_u32_e32 v20, vcc_lo, 0, v20, vcc_lo
	v_cmp_ne_u32_e32 vcc_lo, 0, v2
	s_waitcnt vmcnt(3)
	v_mul_f16_sdwa v26, v24, v8 dst_sel:DWORD dst_unused:UNUSED_PAD src0_sel:DWORD src1_sel:WORD_1
	v_lshrrev_b32_e32 v27, v19, v22
	v_and_b32_e32 v7, 0xffff, v7
	v_cndmask_b32_e64 v2, 0, 1, vcc_lo
	v_cmp_gt_i32_e32 vcc_lo, 31, v18
	v_lshlrev_b32_e32 v17, v19, v27
	v_fmac_f16_e32 v26, v11, v8
	v_and_or_b32 v9, 0x1ff, v10, v9
	v_lshl_or_b32 v2, v2, 9, 0x7c00
	v_cndmask_b32_e32 v20, 0x7c00, v20, vcc_lo
	v_cmp_eq_u32_e32 vcc_lo, 0x40f, v18
	v_cvt_f32_f16_e32 v19, v26
	v_mul_f16_sdwa v11, v11, v8 dst_sel:DWORD dst_unused:UNUSED_PAD src0_sel:DWORD src1_sel:WORD_1
	v_cndmask_b32_e32 v18, v20, v2, vcc_lo
	v_cmp_ne_u32_e32 vcc_lo, v17, v22
	v_lshrrev_b32_e32 v20, 16, v3
	v_cvt_f64_f32_e32 v[2:3], v19
	v_add_nc_u32_e32 v19, 0xfffffc10, v25
	v_lshrrev_b32_e32 v22, 8, v10
	v_cndmask_b32_e64 v17, 0, 1, vcc_lo
	v_cmp_ne_u32_e32 vcc_lo, 0, v9
	v_bfe_u32 v25, v10, 20, 11
	v_and_or_b32 v18, 0x8000, v20, v18
	v_lshl_or_b32 v20, v19, 12, v0
	v_or_b32_e32 v17, v27, v17
	v_cndmask_b32_e64 v9, 0, 1, vcc_lo
	v_cmp_gt_i32_e32 vcc_lo, 1, v19
	v_lshl_or_b32 v18, v18, 16, v7
	v_fma_f16 v8, v8, v24, -v11
	v_add_nc_u32_e32 v11, 0xfffffc10, v25
	v_and_or_b32 v9, 0xffe, v22, v9
	v_sub_nc_u32_e32 v22, 0x3f1, v25
	v_cndmask_b32_e32 v17, v20, v17, vcc_lo
	v_add_co_u32 v13, vcc_lo, v15, s18
	v_or_b32_e32 v20, 0x1000, v9
	v_med3_i32 v22, v22, 0, 13
	v_and_b32_e32 v7, 7, v17
	v_mul_f64 v[2:3], v[2:3], s[16:17]
	v_add_co_ci_u32_e32 v14, vcc_lo, s19, v16, vcc_lo
	v_lshrrev_b32_e32 v21, v22, v20
	v_cmp_lt_i32_e32 vcc_lo, 5, v7
	v_cmp_eq_u32_e64 s0, 3, v7
	v_lshrrev_b32_e32 v7, 2, v17
	v_lshl_or_b32 v17, v11, 12, v9
	v_lshlrev_b32_e32 v15, v22, v21
	v_lshrrev_b32_e32 v10, 16, v10
	s_or_b32 vcc_lo, s0, vcc_lo
	global_store_dword v[13:14], v18, off
	v_add_co_ci_u32_e32 v16, vcc_lo, 0, v7, vcc_lo
	v_cmp_ne_u32_e64 s1, v15, v20
	v_cvt_f32_f16_e32 v7, v8
	v_cmp_ne_u32_e32 vcc_lo, 0, v0
	v_cndmask_b32_e64 v15, 0, 1, s1
	v_cvt_f64_f32_e32 v[7:8], v7
	v_cndmask_b32_e64 v0, 0, 1, vcc_lo
	v_cmp_gt_i32_e32 vcc_lo, 1, v11
	v_and_or_b32 v2, 0x1ff, v3, v2
	v_or_b32_e32 v15, v21, v15
	v_lshrrev_b32_e32 v20, 8, v3
	v_lshl_or_b32 v0, v0, 9, 0x7c00
	v_bfe_u32 v21, v3, 20, 11
	v_lshrrev_b32_e32 v3, 16, v3
	v_cndmask_b32_e32 v15, v17, v15, vcc_lo
	v_cmp_gt_i32_e32 vcc_lo, 31, v19
	v_and_b32_e32 v17, 7, v15
	v_cndmask_b32_e32 v16, 0x7c00, v16, vcc_lo
	v_cmp_ne_u32_e32 vcc_lo, 0, v2
	v_lshrrev_b32_e32 v15, 2, v15
	v_cmp_eq_u32_e64 s0, 3, v17
	v_cndmask_b32_e64 v2, 0, 1, vcc_lo
	v_cmp_eq_u32_e32 vcc_lo, 0x40f, v19
	v_mul_f64 v[7:8], v[7:8], s[16:17]
	v_and_or_b32 v2, 0xffe, v20, v2
	v_cndmask_b32_e32 v16, v16, v0, vcc_lo
	v_cmp_lt_i32_e32 vcc_lo, 5, v17
	v_lshrrev_b32_e32 v17, 16, v12
	v_sub_nc_u32_e32 v0, 0x3f1, v21
	v_or_b32_e32 v19, 0x1000, v2
	v_and_or_b32 v16, 0x8000, v23, v16
	s_or_b32 vcc_lo, s0, vcc_lo
	s_waitcnt vmcnt(2)
	v_mul_f16_sdwa v20, v17, v5 dst_sel:DWORD dst_unused:UNUSED_PAD src0_sel:DWORD src1_sel:WORD_1
	v_add_co_ci_u32_e32 v15, vcc_lo, 0, v15, vcc_lo
	v_med3_i32 v0, v0, 0, 13
	v_cmp_ne_u32_e32 vcc_lo, 0, v9
	v_fmac_f16_e32 v20, v12, v5
	v_and_b32_e32 v16, 0xffff, v16
	v_mul_f16_sdwa v12, v12, v5 dst_sel:DWORD dst_unused:UNUSED_PAD src0_sel:DWORD src1_sel:WORD_1
	v_lshrrev_b32_e32 v22, v0, v19
	v_cndmask_b32_e64 v9, 0, 1, vcc_lo
	v_cmp_gt_i32_e32 vcc_lo, 31, v11
	v_cvt_f32_f16_e32 v1, v20
	v_and_or_b32 v7, 0x1ff, v8, v7
	v_lshlrev_b32_e32 v20, v0, v22
	v_lshl_or_b32 v9, v9, 9, 0x7c00
	v_cndmask_b32_e32 v15, 0x7c00, v15, vcc_lo
	v_cmp_eq_u32_e32 vcc_lo, 0x40f, v11
	v_cvt_f64_f32_e32 v[0:1], v1
	v_fma_f16 v5, v5, v17, -v12
	v_add_nc_u32_e32 v12, 0x1200, v31
	v_cndmask_b32_e32 v9, v15, v9, vcc_lo
	v_cmp_ne_u32_e32 vcc_lo, v20, v19
	v_add_nc_u32_e32 v15, 0xfffffc10, v21
	v_lshrrev_b32_e32 v19, 8, v8
	v_bfe_u32 v20, v8, 20, 11
	v_and_or_b32 v9, 0x8000, v10, v9
	v_cndmask_b32_e64 v11, 0, 1, vcc_lo
	v_cmp_ne_u32_e32 vcc_lo, 0, v7
	v_cvt_f32_f16_e32 v5, v5
	v_lshrrev_b32_e32 v8, 16, v8
	v_lshl_or_b32 v16, v9, 16, v16
	v_or_b32_e32 v10, v22, v11
	v_lshl_or_b32 v11, v15, 12, v2
	v_cndmask_b32_e64 v7, 0, 1, vcc_lo
	v_cmp_gt_i32_e32 vcc_lo, 1, v15
	v_and_or_b32 v7, 0xffe, v19, v7
	v_cndmask_b32_e32 v11, v11, v10, vcc_lo
	v_sub_nc_u32_e32 v10, 0x3f1, v20
	v_mul_f64 v[0:1], v[0:1], s[16:17]
	v_add_co_u32 v9, vcc_lo, v13, s18
	v_or_b32_e32 v19, 0x1000, v7
	v_med3_i32 v21, v10, 0, 13
	v_and_b32_e32 v18, 7, v11
	v_add_co_ci_u32_e32 v10, vcc_lo, s19, v14, vcc_lo
	v_lshrrev_b32_e32 v11, 2, v11
	v_lshrrev_b32_e32 v22, v21, v19
	v_cmp_lt_i32_e32 vcc_lo, 5, v18
	v_cmp_eq_u32_e64 s0, 3, v18
	v_lshlrev_b32_e32 v13, v21, v22
	s_or_b32 vcc_lo, s0, vcc_lo
	v_add_co_ci_u32_e32 v17, vcc_lo, 0, v11, vcc_lo
	v_cmp_ne_u32_e32 vcc_lo, v13, v19
	v_cvt_f64_f32_e32 v[13:14], v5
	v_and_or_b32 v0, 0x1ff, v1, v0
	v_add_nc_u32_e32 v5, 0xfffffc10, v20
	ds_read2_b32 v[11:12], v12 offset0:108 offset1:248
	v_cndmask_b32_e64 v18, 0, 1, vcc_lo
	v_cmp_gt_i32_e32 vcc_lo, 31, v15
	v_lshrrev_b32_e32 v20, 8, v1
	v_lshl_or_b32 v19, v5, 12, v7
	v_bfe_u32 v21, v1, 20, 11
	v_or_b32_e32 v18, v22, v18
	v_cndmask_b32_e32 v17, 0x7c00, v17, vcc_lo
	v_cmp_ne_u32_e32 vcc_lo, 0, v0
	v_cndmask_b32_e64 v0, 0, 1, vcc_lo
	v_cmp_ne_u32_e32 vcc_lo, 0, v2
	v_and_or_b32 v0, 0xffe, v20, v0
	v_cndmask_b32_e64 v2, 0, 1, vcc_lo
	v_cmp_gt_i32_e32 vcc_lo, 1, v5
	s_waitcnt lgkmcnt(0)
	v_lshrrev_b32_e32 v20, 16, v11
	v_mul_f64 v[13:14], v[13:14], s[16:17]
	v_or_b32_e32 v23, 0x1000, v0
	v_lshl_or_b32 v2, v2, 9, 0x7c00
	v_cndmask_b32_e32 v18, v19, v18, vcc_lo
	v_sub_nc_u32_e32 v19, 0x3f1, v21
	v_cmp_eq_u32_e32 vcc_lo, 0x40f, v15
	s_waitcnt vmcnt(1)
	v_mul_f16_sdwa v24, v20, v4 dst_sel:DWORD dst_unused:UNUSED_PAD src0_sel:DWORD src1_sel:WORD_1
	v_add_nc_u32_e32 v21, 0xfffffc10, v21
	v_and_b32_e32 v22, 7, v18
	v_med3_i32 v19, v19, 0, 13
	v_cndmask_b32_e32 v2, v17, v2, vcc_lo
	v_fmac_f16_e32 v24, v11, v4
	v_cmp_lt_i32_e32 vcc_lo, 5, v22
	v_lshrrev_b32_e32 v15, v19, v23
	v_cmp_eq_u32_e64 s0, 3, v22
	v_and_or_b32 v17, 0x8000, v3, v2
	v_lshrrev_b32_e32 v2, 2, v18
	v_cvt_f32_f16_e32 v18, v24
	v_lshlrev_b32_e32 v3, v19, v15
	s_or_b32 vcc_lo, s0, vcc_lo
	v_add_co_ci_u32_e32 v19, vcc_lo, 0, v2, vcc_lo
	v_cmp_ne_u32_e32 vcc_lo, v3, v23
	v_cvt_f64_f32_e32 v[2:3], v18
	v_lshl_or_b32 v18, v21, 12, v0
	v_and_or_b32 v13, 0x1ff, v14, v13
	v_cndmask_b32_e64 v22, 0, 1, vcc_lo
	v_cmp_ne_u32_e32 vcc_lo, 0, v7
	v_or_b32_e32 v15, v15, v22
	v_cndmask_b32_e64 v7, 0, 1, vcc_lo
	v_cmp_gt_i32_e32 vcc_lo, 31, v5
	v_bfe_u32 v22, v14, 20, 11
	v_lshl_or_b32 v7, v7, 9, 0x7c00
	v_cndmask_b32_e32 v19, 0x7c00, v19, vcc_lo
	v_cmp_gt_i32_e32 vcc_lo, 1, v21
	v_cndmask_b32_e32 v15, v18, v15, vcc_lo
	v_cmp_ne_u32_e32 vcc_lo, 0, v13
	v_lshrrev_b32_e32 v18, 8, v14
	v_mul_f64 v[2:3], v[2:3], s[16:17]
	v_lshrrev_b32_e32 v14, 16, v14
	v_and_b32_e32 v23, 7, v15
	v_cndmask_b32_e64 v13, 0, 1, vcc_lo
	v_cmp_eq_u32_e32 vcc_lo, 0x40f, v5
	v_cmp_eq_u32_e64 s0, 3, v23
	v_and_or_b32 v13, 0xffe, v18, v13
	v_cndmask_b32_e32 v5, v19, v7, vcc_lo
	v_sub_nc_u32_e32 v7, 0x3f1, v22
	v_cmp_lt_i32_e32 vcc_lo, 5, v23
	v_lshrrev_b32_e32 v19, 16, v1
	v_or_b32_e32 v18, 0x1000, v13
	v_and_or_b32 v5, 0x8000, v8, v5
	v_lshrrev_b32_e32 v8, 2, v15
	v_med3_i32 v7, v7, 0, 13
	s_or_b32 vcc_lo, s0, vcc_lo
	v_and_b32_e32 v15, 0xffff, v17
	v_add_co_ci_u32_e32 v8, vcc_lo, 0, v8, vcc_lo
	v_lshrrev_b32_e32 v17, v7, v18
	v_cmp_ne_u32_e32 vcc_lo, 0, v0
	v_lshl_or_b32 v15, v5, 16, v15
	v_and_or_b32 v2, 0x1ff, v3, v2
	v_lshlrev_b32_e32 v5, v7, v17
	v_cndmask_b32_e64 v0, 0, 1, vcc_lo
	v_cmp_gt_i32_e32 vcc_lo, 31, v21
	v_lshl_or_b32 v0, v0, 9, 0x7c00
	v_cndmask_b32_e32 v7, 0x7c00, v8, vcc_lo
	v_cmp_ne_u32_e32 vcc_lo, v5, v18
	v_mul_f16_sdwa v8, v11, v4 dst_sel:DWORD dst_unused:UNUSED_PAD src0_sel:DWORD src1_sel:WORD_1
	v_add_nc_u32_e32 v11, 0xfffffc10, v22
	v_bfe_u32 v18, v3, 20, 11
	v_cndmask_b32_e64 v5, 0, 1, vcc_lo
	v_cmp_eq_u32_e32 vcc_lo, 0x40f, v21
	v_fma_f16 v4, v4, v20, -v8
	v_lshl_or_b32 v8, v11, 12, v13
	v_cndmask_b32_e32 v7, v7, v0, vcc_lo
	v_cmp_ne_u32_e32 vcc_lo, 0, v2
	v_cvt_f32_f16_e32 v4, v4
	v_or_b32_e32 v0, v17, v5
	v_lshrrev_b32_e32 v17, 8, v3
	v_and_or_b32 v19, 0x8000, v19, v7
	v_cndmask_b32_e64 v2, 0, 1, vcc_lo
	v_cmp_gt_i32_e32 vcc_lo, 1, v11
	v_cvt_f64_f32_e32 v[4:5], v4
	v_lshrrev_b32_e32 v3, 16, v3
	v_and_or_b32 v2, 0xffe, v17, v2
	v_cndmask_b32_e32 v8, v8, v0, vcc_lo
	v_sub_nc_u32_e32 v0, 0x3f1, v18
	v_lshrrev_b32_e32 v17, 16, v12
	v_add_nc_u32_e32 v18, 0xfffffc10, v18
	v_or_b32_e32 v21, 0x1000, v2
	v_and_b32_e32 v20, 7, v8
	v_med3_i32 v22, v0, 0, 13
	s_waitcnt vmcnt(0)
	v_mul_f16_sdwa v23, v17, v6 dst_sel:DWORD dst_unused:UNUSED_PAD src0_sel:DWORD src1_sel:WORD_1
	v_add_co_u32 v0, vcc_lo, v9, s18
	v_add_co_ci_u32_e32 v1, vcc_lo, s19, v10, vcc_lo
	v_lshrrev_b32_e32 v24, v22, v21
	v_cmp_lt_i32_e32 vcc_lo, 5, v20
	v_cmp_eq_u32_e64 s0, 3, v20
	v_fmac_f16_e32 v23, v12, v6
	v_lshrrev_b32_e32 v7, 2, v8
	v_lshlrev_b32_e32 v20, v22, v24
	v_mul_f64 v[4:5], v[4:5], s[16:17]
	s_or_b32 vcc_lo, s0, vcc_lo
	v_cvt_f32_f16_e32 v8, v23
	v_add_co_ci_u32_e32 v22, vcc_lo, 0, v7, vcc_lo
	v_cmp_ne_u32_e32 vcc_lo, v20, v21
	v_mul_f16_sdwa v12, v12, v6 dst_sel:DWORD dst_unused:UNUSED_PAD src0_sel:DWORD src1_sel:WORD_1
	v_cvt_f64_f32_e32 v[7:8], v8
	v_lshl_or_b32 v21, v18, 12, v2
	v_cndmask_b32_e64 v20, 0, 1, vcc_lo
	v_cmp_ne_u32_e32 vcc_lo, 0, v13
	v_fma_f16 v6, v6, v17, -v12
	v_or_b32_e32 v20, v24, v20
	v_cndmask_b32_e64 v13, 0, 1, vcc_lo
	v_cmp_gt_i32_e32 vcc_lo, 31, v11
	v_cvt_f32_f16_e32 v6, v6
	v_lshl_or_b32 v13, v13, 9, 0x7c00
	v_cndmask_b32_e32 v12, 0x7c00, v22, vcc_lo
	v_cmp_gt_i32_e32 vcc_lo, 1, v18
	v_and_or_b32 v4, 0x1ff, v5, v4
	v_cndmask_b32_e32 v17, v21, v20, vcc_lo
	v_cmp_eq_u32_e32 vcc_lo, 0x40f, v11
	v_bfe_u32 v21, v5, 20, 11
	v_and_b32_e32 v20, 7, v17
	v_cndmask_b32_e32 v13, v12, v13, vcc_lo
	v_cvt_f64_f32_e32 v[11:12], v6
	v_mul_f64 v[6:7], v[7:8], s[16:17]
	v_cmp_ne_u32_e32 vcc_lo, 0, v4
	v_lshrrev_b32_e32 v8, 8, v5
	v_and_or_b32 v13, 0x8000, v14, v13
	v_and_b32_e32 v14, 0xffff, v19
	v_cmp_eq_u32_e64 s0, 3, v20
	v_cndmask_b32_e64 v4, 0, 1, vcc_lo
	v_cmp_lt_i32_e32 vcc_lo, 5, v20
	v_lshrrev_b32_e32 v5, 16, v5
	v_lshl_or_b32 v13, v13, 16, v14
	v_lshrrev_b32_e32 v14, 2, v17
	v_and_or_b32 v4, 0xffe, v8, v4
	v_sub_nc_u32_e32 v8, 0x3f1, v21
	s_or_b32 vcc_lo, s0, vcc_lo
	v_add_co_ci_u32_e32 v14, vcc_lo, 0, v14, vcc_lo
	v_or_b32_e32 v17, 0x1000, v4
	v_med3_i32 v8, v8, 0, 13
	v_cmp_ne_u32_e32 vcc_lo, 0, v2
	v_mul_f64 v[11:12], v[11:12], s[16:17]
	v_and_or_b32 v6, 0x1ff, v7, v6
	v_lshrrev_b32_e32 v19, v8, v17
	v_cndmask_b32_e64 v2, 0, 1, vcc_lo
	v_cmp_gt_i32_e32 vcc_lo, 31, v18
	v_lshrrev_b32_e32 v20, 8, v7
	v_bfe_u32 v22, v7, 20, 11
	v_lshlrev_b32_e32 v8, v8, v19
	v_lshl_or_b32 v2, v2, 9, 0x7c00
	v_cndmask_b32_e32 v14, 0x7c00, v14, vcc_lo
	v_cmp_ne_u32_e32 vcc_lo, 0, v6
	v_lshrrev_b32_e32 v7, 16, v7
	v_cndmask_b32_e64 v6, 0, 1, vcc_lo
	v_cmp_ne_u32_e32 vcc_lo, v8, v17
	v_add_nc_u32_e32 v17, 0xfffffc10, v21
	v_and_or_b32 v6, 0xffe, v20, v6
	v_cndmask_b32_e64 v8, 0, 1, vcc_lo
	v_sub_nc_u32_e32 v20, 0x3f1, v22
	v_cmp_eq_u32_e32 vcc_lo, 0x40f, v18
	v_and_or_b32 v11, 0x1ff, v12, v11
	v_or_b32_e32 v18, 0x1000, v6
	v_or_b32_e32 v8, v19, v8
	v_med3_i32 v19, v20, 0, 13
	v_cndmask_b32_e32 v2, v14, v2, vcc_lo
	v_lshl_or_b32 v14, v17, 12, v4
	v_cmp_gt_i32_e32 vcc_lo, 1, v17
	v_lshrrev_b32_e32 v20, 8, v12
	v_bfe_u32 v21, v12, 20, 11
	v_and_or_b32 v2, 0x8000, v3, v2
	v_cndmask_b32_e32 v8, v14, v8, vcc_lo
	v_lshrrev_b32_e32 v14, v19, v18
	v_cmp_ne_u32_e32 vcc_lo, 0, v11
	v_and_b32_e32 v23, 7, v8
	v_lshlrev_b32_e32 v19, v19, v14
	v_cndmask_b32_e64 v11, 0, 1, vcc_lo
	v_lshrrev_b32_e32 v8, 2, v8
	v_cmp_lt_i32_e32 vcc_lo, 5, v23
	v_cmp_ne_u32_e64 s0, v19, v18
	v_and_or_b32 v3, 0xffe, v20, v11
	v_sub_nc_u32_e32 v11, 0x3f1, v21
	v_add_nc_u32_e32 v20, 0xfffffc10, v22
	v_cndmask_b32_e64 v18, 0, 1, s0
	v_cmp_eq_u32_e64 s0, 3, v23
	v_or_b32_e32 v19, 0x1000, v3
	v_med3_i32 v11, v11, 0, 13
	v_lshl_or_b32 v22, v20, 12, v6
	v_or_b32_e32 v14, v14, v18
	s_or_b32 vcc_lo, s0, vcc_lo
	v_add_co_ci_u32_e32 v8, vcc_lo, 0, v8, vcc_lo
	v_lshrrev_b32_e32 v18, v11, v19
	v_cmp_gt_i32_e32 vcc_lo, 1, v20
	v_lshlrev_b32_e32 v11, v11, v18
	v_cndmask_b32_e32 v14, v22, v14, vcc_lo
	v_cmp_ne_u32_e32 vcc_lo, 0, v4
	v_cndmask_b32_e64 v4, 0, 1, vcc_lo
	v_cmp_ne_u32_e32 vcc_lo, v11, v19
	v_add_nc_u32_e32 v19, 0xfffffc10, v21
	v_and_b32_e32 v21, 7, v14
	v_lshl_or_b32 v4, v4, 9, 0x7c00
	v_cndmask_b32_e64 v11, 0, 1, vcc_lo
	v_cmp_gt_i32_e32 vcc_lo, 31, v17
	v_cmp_gt_i32_e64 s1, 1, v19
	v_cmp_eq_u32_e64 s0, 3, v21
	v_or_b32_e32 v11, v18, v11
	v_lshl_or_b32 v18, v19, 12, v3
	v_cndmask_b32_e32 v8, 0x7c00, v8, vcc_lo
	v_cmp_lt_i32_e32 vcc_lo, 5, v21
	v_cndmask_b32_e64 v11, v18, v11, s1
	v_cmp_eq_u32_e64 s1, 0x40f, v17
	s_or_b32 vcc_lo, s0, vcc_lo
	v_cndmask_b32_e64 v4, v8, v4, s1
	v_lshrrev_b32_e32 v8, 2, v14
	v_and_b32_e32 v14, 7, v11
	v_lshrrev_b32_e32 v11, 2, v11
	v_cmp_gt_i32_e64 s1, 31, v20
	v_and_or_b32 v4, 0x8000, v5, v4
	v_add_co_ci_u32_e32 v8, vcc_lo, 0, v8, vcc_lo
	v_cmp_ne_u32_e32 vcc_lo, 0, v6
	v_cmp_eq_u32_e64 s0, 3, v14
	v_and_b32_e32 v5, 0xffff, v2
	v_cndmask_b32_e64 v8, 0x7c00, v8, s1
	v_cndmask_b32_e64 v6, 0, 1, vcc_lo
	v_cmp_lt_i32_e32 vcc_lo, 5, v14
	v_lshl_or_b32 v6, v6, 9, 0x7c00
	s_or_b32 vcc_lo, s0, vcc_lo
	v_add_co_ci_u32_e32 v11, vcc_lo, 0, v11, vcc_lo
	v_cmp_ne_u32_e32 vcc_lo, 0, v3
	v_cndmask_b32_e64 v3, 0, 1, vcc_lo
	v_cmp_eq_u32_e32 vcc_lo, 0x40f, v20
	v_lshl_or_b32 v3, v3, 9, 0x7c00
	v_cndmask_b32_e32 v6, v8, v6, vcc_lo
	v_cmp_gt_i32_e32 vcc_lo, 31, v19
	v_and_or_b32 v6, 0x8000, v7, v6
	v_cndmask_b32_e32 v8, 0x7c00, v11, vcc_lo
	v_cmp_eq_u32_e32 vcc_lo, 0x40f, v19
	v_lshl_or_b32 v11, v4, 16, v5
	v_and_b32_e32 v6, 0xffff, v6
	v_cndmask_b32_e32 v7, v8, v3, vcc_lo
	v_lshrrev_b32_e32 v8, 16, v12
	v_add_co_u32 v2, vcc_lo, v0, s18
	v_add_co_ci_u32_e32 v3, vcc_lo, s19, v1, vcc_lo
	v_and_or_b32 v7, 0x8000, v8, v7
	v_add_co_u32 v4, vcc_lo, v2, s18
	v_add_co_ci_u32_e32 v5, vcc_lo, s19, v3, vcc_lo
	v_lshl_or_b32 v8, v7, 16, v6
	v_add_co_u32 v6, vcc_lo, v4, s18
	v_add_co_ci_u32_e32 v7, vcc_lo, s19, v5, vcc_lo
	global_store_dword v[9:10], v16, off
	global_store_dword v[0:1], v15, off
	;; [unrolled: 1-line block ×5, first 2 shown]
.LBB0_23:
	s_endpgm
	.section	.rodata,"a",@progbits
	.p2align	6, 0x0
	.amdhsa_kernel bluestein_single_fwd_len1540_dim1_half_op_CI_CI
		.amdhsa_group_segment_fixed_size 6160
		.amdhsa_private_segment_fixed_size 0
		.amdhsa_kernarg_size 104
		.amdhsa_user_sgpr_count 6
		.amdhsa_user_sgpr_private_segment_buffer 1
		.amdhsa_user_sgpr_dispatch_ptr 0
		.amdhsa_user_sgpr_queue_ptr 0
		.amdhsa_user_sgpr_kernarg_segment_ptr 1
		.amdhsa_user_sgpr_dispatch_id 0
		.amdhsa_user_sgpr_flat_scratch_init 0
		.amdhsa_user_sgpr_private_segment_size 0
		.amdhsa_wavefront_size32 1
		.amdhsa_uses_dynamic_stack 0
		.amdhsa_system_sgpr_private_segment_wavefront_offset 0
		.amdhsa_system_sgpr_workgroup_id_x 1
		.amdhsa_system_sgpr_workgroup_id_y 0
		.amdhsa_system_sgpr_workgroup_id_z 0
		.amdhsa_system_sgpr_workgroup_info 0
		.amdhsa_system_vgpr_workitem_id 0
		.amdhsa_next_free_vgpr 149
		.amdhsa_next_free_sgpr 20
		.amdhsa_reserve_vcc 1
		.amdhsa_reserve_flat_scratch 0
		.amdhsa_float_round_mode_32 0
		.amdhsa_float_round_mode_16_64 0
		.amdhsa_float_denorm_mode_32 3
		.amdhsa_float_denorm_mode_16_64 3
		.amdhsa_dx10_clamp 1
		.amdhsa_ieee_mode 1
		.amdhsa_fp16_overflow 0
		.amdhsa_workgroup_processor_mode 1
		.amdhsa_memory_ordered 1
		.amdhsa_forward_progress 0
		.amdhsa_shared_vgpr_count 0
		.amdhsa_exception_fp_ieee_invalid_op 0
		.amdhsa_exception_fp_denorm_src 0
		.amdhsa_exception_fp_ieee_div_zero 0
		.amdhsa_exception_fp_ieee_overflow 0
		.amdhsa_exception_fp_ieee_underflow 0
		.amdhsa_exception_fp_ieee_inexact 0
		.amdhsa_exception_int_div_zero 0
	.end_amdhsa_kernel
	.text
.Lfunc_end0:
	.size	bluestein_single_fwd_len1540_dim1_half_op_CI_CI, .Lfunc_end0-bluestein_single_fwd_len1540_dim1_half_op_CI_CI
                                        ; -- End function
	.section	.AMDGPU.csdata,"",@progbits
; Kernel info:
; codeLenInByte = 21760
; NumSgprs: 22
; NumVgprs: 149
; ScratchSize: 0
; MemoryBound: 0
; FloatMode: 240
; IeeeMode: 1
; LDSByteSize: 6160 bytes/workgroup (compile time only)
; SGPRBlocks: 2
; VGPRBlocks: 18
; NumSGPRsForWavesPerEU: 22
; NumVGPRsForWavesPerEU: 149
; Occupancy: 6
; WaveLimiterHint : 1
; COMPUTE_PGM_RSRC2:SCRATCH_EN: 0
; COMPUTE_PGM_RSRC2:USER_SGPR: 6
; COMPUTE_PGM_RSRC2:TRAP_HANDLER: 0
; COMPUTE_PGM_RSRC2:TGID_X_EN: 1
; COMPUTE_PGM_RSRC2:TGID_Y_EN: 0
; COMPUTE_PGM_RSRC2:TGID_Z_EN: 0
; COMPUTE_PGM_RSRC2:TIDIG_COMP_CNT: 0
	.text
	.p2alignl 6, 3214868480
	.fill 48, 4, 3214868480
	.type	__hip_cuid_d5b84aa5be26d673,@object ; @__hip_cuid_d5b84aa5be26d673
	.section	.bss,"aw",@nobits
	.globl	__hip_cuid_d5b84aa5be26d673
__hip_cuid_d5b84aa5be26d673:
	.byte	0                               ; 0x0
	.size	__hip_cuid_d5b84aa5be26d673, 1

	.ident	"AMD clang version 19.0.0git (https://github.com/RadeonOpenCompute/llvm-project roc-6.4.0 25133 c7fe45cf4b819c5991fe208aaa96edf142730f1d)"
	.section	".note.GNU-stack","",@progbits
	.addrsig
	.addrsig_sym __hip_cuid_d5b84aa5be26d673
	.amdgpu_metadata
---
amdhsa.kernels:
  - .args:
      - .actual_access:  read_only
        .address_space:  global
        .offset:         0
        .size:           8
        .value_kind:     global_buffer
      - .actual_access:  read_only
        .address_space:  global
        .offset:         8
        .size:           8
        .value_kind:     global_buffer
      - .actual_access:  read_only
        .address_space:  global
        .offset:         16
        .size:           8
        .value_kind:     global_buffer
      - .actual_access:  read_only
        .address_space:  global
        .offset:         24
        .size:           8
        .value_kind:     global_buffer
      - .actual_access:  read_only
        .address_space:  global
        .offset:         32
        .size:           8
        .value_kind:     global_buffer
      - .offset:         40
        .size:           8
        .value_kind:     by_value
      - .address_space:  global
        .offset:         48
        .size:           8
        .value_kind:     global_buffer
      - .address_space:  global
        .offset:         56
        .size:           8
        .value_kind:     global_buffer
      - .address_space:  global
        .offset:         64
        .size:           8
        .value_kind:     global_buffer
      - .address_space:  global
        .offset:         72
        .size:           8
        .value_kind:     global_buffer
      - .offset:         80
        .size:           4
        .value_kind:     by_value
      - .address_space:  global
        .offset:         88
        .size:           8
        .value_kind:     global_buffer
      - .address_space:  global
        .offset:         96
        .size:           8
        .value_kind:     global_buffer
    .group_segment_fixed_size: 6160
    .kernarg_segment_align: 8
    .kernarg_segment_size: 104
    .language:       OpenCL C
    .language_version:
      - 2
      - 0
    .max_flat_workgroup_size: 154
    .name:           bluestein_single_fwd_len1540_dim1_half_op_CI_CI
    .private_segment_fixed_size: 0
    .sgpr_count:     22
    .sgpr_spill_count: 0
    .symbol:         bluestein_single_fwd_len1540_dim1_half_op_CI_CI.kd
    .uniform_work_group_size: 1
    .uses_dynamic_stack: false
    .vgpr_count:     149
    .vgpr_spill_count: 0
    .wavefront_size: 32
    .workgroup_processor_mode: 1
amdhsa.target:   amdgcn-amd-amdhsa--gfx1030
amdhsa.version:
  - 1
  - 2
...

	.end_amdgpu_metadata
